;; amdgpu-corpus repo=zjin-lcf/HeCBench kind=compiled arch=gfx1250 opt=O3
	.amdgcn_target "amdgcn-amd-amdhsa--gfx1250"
	.amdhsa_code_object_version 6
	.section	.text._Z14scatter_kernelIiL13ReductionType1EEvPKT_10TensorInfoIllEPS1_iiii,"axG",@progbits,_Z14scatter_kernelIiL13ReductionType1EEvPKT_10TensorInfoIllEPS1_iiii,comdat
	.protected	_Z14scatter_kernelIiL13ReductionType1EEvPKT_10TensorInfoIllEPS1_iiii ; -- Begin function _Z14scatter_kernelIiL13ReductionType1EEvPKT_10TensorInfoIllEPS1_iiii
	.globl	_Z14scatter_kernelIiL13ReductionType1EEvPKT_10TensorInfoIllEPS1_iiii
	.p2align	8
	.type	_Z14scatter_kernelIiL13ReductionType1EEvPKT_10TensorInfoIllEPS1_iiii,@function
_Z14scatter_kernelIiL13ReductionType1EEvPKT_10TensorInfoIllEPS1_iiii: ; @_Z14scatter_kernelIiL13ReductionType1EEvPKT_10TensorInfoIllEPS1_iiii
; %bb.0:
	s_clause 0x1
	s_load_b32 s2, s[0:1], 0x1cc
	s_load_b128 s[4:7], s[0:1], 0x1b0
	s_bfe_u32 s3, ttmp6, 0x4000c
	s_and_b32 s8, ttmp6, 15
	s_add_co_i32 s3, s3, 1
	s_getreg_b32 s9, hwreg(HW_REG_IB_STS2, 6, 4)
	s_mul_i32 s3, ttmp9, s3
	s_mov_b32 s11, 0
	s_add_co_i32 s8, s8, s3
	s_wait_kmcnt 0x0
	s_and_b32 s2, s2, 0xffff
	s_cmp_eq_u32 s9, 0
	s_cselect_b32 s3, ttmp9, s8
	s_delay_alu instid0(SALU_CYCLE_1) | instskip(SKIP_1) | instid1(VALU_DEP_1)
	v_mad_u32 v0, s3, s2, v0
	s_mov_b32 s2, exec_lo
	v_cmpx_gt_i32_e64 s7, v0
	s_cbranch_execz .LBB0_12
; %bb.1:
	s_abs_i32 s7, s5
	s_mul_i32 s24, s5, s4
	s_cvt_f32_u32 s2, s7
	s_abs_i32 s4, s24
	s_load_b32 s16, s[0:1], 0x1a0
	s_cvt_f32_u32 s3, s4
	v_rcp_iflag_f32_e32 v1, s2
	s_sub_co_i32 s10, 0, s7
	s_sub_co_i32 s12, 0, s4
	v_rcp_iflag_f32_e32 v2, s3
	v_mov_b64_e32 v[4:5], 0
	s_add_nc_u64 s[8:9], s[0:1], 8
	s_mov_b32 s13, s11
	v_readfirstlane_b32 s2, v1
	v_dual_mov_b32 v6, 0 :: v_dual_sub_nc_u32 v1, 0, v0
	s_delay_alu instid0(TRANS32_DEP_1) | instskip(SKIP_3) | instid1(SALU_CYCLE_1)
	v_readfirstlane_b32 s3, v2
	s_mul_f32 s2, s2, 0x4f7ffffe
	v_dual_mov_b32 v3, v6 :: v_dual_max_i32 v2, v0, v1
	s_mul_f32 s3, s3, 0x4f7ffffe
	s_cvt_u32_f32 s2, s2
	v_ashrrev_i32_e32 v1, 31, v0
	s_delay_alu instid0(SALU_CYCLE_1) | instskip(NEXT) | instid1(SALU_CYCLE_1)
	s_cvt_u32_f32 s3, s3
	s_mul_i32 s10, s10, s2
	s_delay_alu instid0(SALU_CYCLE_1) | instskip(NEXT) | instid1(SALU_CYCLE_1)
	s_mul_hi_u32 s10, s2, s10
	s_mul_i32 s12, s12, s3
	s_add_co_i32 s10, s2, s10
	s_mul_hi_u32 s2, s3, s12
	s_delay_alu instid0(SALU_CYCLE_1)
	s_add_co_i32 s12, s3, s2
	s_wait_kmcnt 0x0
	s_cmp_lt_i32 s16, 2
	s_cbranch_scc1 .LBB0_9
; %bb.2:
	s_add_co_i32 s2, s16, -1
	s_mov_b32 s3, 0
	v_mov_b64_e32 v[4:5], 0
	v_mov_b64_e32 v[8:9], v[0:1]
	s_lshl_b64 s[18:19], s[2:3], 3
	s_mov_b64 s[14:15], 0xffffffff
	s_add_nc_u64 s[18:19], s[8:9], s[18:19]
	s_add_co_i32 s25, s16, 1
	s_add_nc_u64 s[16:17], s[18:19], 8
.LBB0_3:                                ; =>This Inner Loop Header: Depth=1
	s_load_b64 s[18:19], s[16:17], 0x0
                                        ; implicit-def: $vgpr10_vgpr11
	s_mov_b32 s2, exec_lo
	s_wait_kmcnt 0x0
	s_delay_alu instid0(VALU_DEP_1) | instskip(NEXT) | instid1(VALU_DEP_1)
	v_or_b32_e32 v7, s19, v9
	v_cmpx_ne_u64_e32 0, v[6:7]
	s_xor_b32 s26, exec_lo, s2
	s_cbranch_execz .LBB0_5
; %bb.4:                                ;   in Loop: Header=BB0_3 Depth=1
	s_ashr_i32 s20, s19, 31
	v_dual_mov_b32 v15, v6 :: v_dual_ashrrev_i32 v10, 31, v9
	s_mov_b32 s21, s20
	v_mov_b32_e32 v23, v6
	s_add_nc_u64 s[22:23], s[18:19], s[20:21]
	s_delay_alu instid0(VALU_DEP_2) | instskip(SKIP_1) | instid1(SALU_CYCLE_1)
	v_mov_b32_e32 v11, v10
	s_xor_b64 s[22:23], s[22:23], s[20:21]
	s_cvt_f32_u32 s2, s22
	s_cvt_f32_u32 s21, s23
	s_sub_nc_u64 s[30:31], 0, s[22:23]
	v_add_nc_u64_e32 v[12:13], v[8:9], v[10:11]
	v_mov_b32_e32 v19, v6
	s_fmamk_f32 s2, s21, 0x4f800000, s2
	s_delay_alu instid0(SALU_CYCLE_3) | instskip(NEXT) | instid1(VALU_DEP_2)
	v_s_rcp_f32 s2, s2
	v_xor_b32_e32 v14, v12, v10
	s_delay_alu instid0(VALU_DEP_3) | instskip(NEXT) | instid1(TRANS32_DEP_1)
	v_xor_b32_e32 v18, v13, v10
	s_mul_f32 s2, s2, 0x5f7ffffc
	s_delay_alu instid0(SALU_CYCLE_3) | instskip(NEXT) | instid1(SALU_CYCLE_3)
	s_mul_f32 s21, s2, 0x2f800000
	s_trunc_f32 s21, s21
	s_delay_alu instid0(SALU_CYCLE_3) | instskip(SKIP_1) | instid1(SALU_CYCLE_2)
	s_fmamk_f32 s2, s21, 0xcf800000, s2
	s_cvt_u32_f32 s29, s21
	s_cvt_u32_f32 s28, s2
	s_delay_alu instid0(SALU_CYCLE_3) | instskip(NEXT) | instid1(SALU_CYCLE_1)
	s_mul_u64 s[34:35], s[30:31], s[28:29]
	s_mul_hi_u32 s37, s28, s35
	s_mul_i32 s36, s28, s35
	s_mul_hi_u32 s2, s28, s34
	s_mul_i32 s27, s29, s34
	s_add_nc_u64 s[36:37], s[2:3], s[36:37]
	s_mul_hi_u32 s21, s29, s34
	s_mul_hi_u32 s33, s29, s35
	s_add_co_u32 s2, s36, s27
	s_add_co_ci_u32 s2, s37, s21
	s_mul_i32 s34, s29, s35
	s_add_co_ci_u32 s35, s33, 0
	s_delay_alu instid0(SALU_CYCLE_1) | instskip(NEXT) | instid1(SALU_CYCLE_1)
	s_add_nc_u64 s[34:35], s[2:3], s[34:35]
	s_add_co_u32 s28, s28, s34
	s_cselect_b32 s2, -1, 0
	s_delay_alu instid0(SALU_CYCLE_1) | instskip(SKIP_1) | instid1(SALU_CYCLE_1)
	s_cmp_lg_u32 s2, 0
	s_add_co_ci_u32 s29, s29, s35
	s_mul_u64 s[30:31], s[30:31], s[28:29]
	s_delay_alu instid0(SALU_CYCLE_1)
	s_mul_hi_u32 s35, s28, s31
	s_mul_i32 s34, s28, s31
	s_mul_hi_u32 s2, s28, s30
	s_mul_i32 s27, s29, s30
	s_add_nc_u64 s[34:35], s[2:3], s[34:35]
	s_mul_hi_u32 s21, s29, s30
	s_mul_hi_u32 s33, s29, s31
	s_add_co_u32 s2, s34, s27
	s_add_co_ci_u32 s2, s35, s21
	s_mul_i32 s30, s29, s31
	s_add_co_ci_u32 s31, s33, 0
	s_delay_alu instid0(SALU_CYCLE_1) | instskip(NEXT) | instid1(SALU_CYCLE_1)
	s_add_nc_u64 s[30:31], s[2:3], s[30:31]
	s_add_co_u32 s28, s28, s30
	s_cselect_b32 s2, -1, 0
	v_mul_hi_u32 v22, v14, s28
	s_cmp_lg_u32 s2, 0
	s_add_co_ci_u32 s2, s29, s31
	s_and_b64 s[30:31], s[28:29], s[14:15]
	v_mul_u64_e32 v[16:17], s[2:3], v[14:15]
	v_mul_u64_e32 v[12:13], s[30:31], v[18:19]
	;; [unrolled: 1-line block ×3, first 2 shown]
	s_delay_alu instid0(VALU_DEP_3) | instskip(NEXT) | instid1(VALU_DEP_1)
	v_add_nc_u64_e32 v[16:17], v[22:23], v[16:17]
	v_add_co_u32 v7, vcc_lo, v16, v12
	s_delay_alu instid0(VALU_DEP_2) | instskip(NEXT) | instid1(VALU_DEP_4)
	v_add_co_ci_u32_e32 v22, vcc_lo, v17, v13, vcc_lo
	v_add_co_ci_u32_e32 v21, vcc_lo, 0, v21, vcc_lo
	s_delay_alu instid0(VALU_DEP_1) | instskip(NEXT) | instid1(VALU_DEP_1)
	v_add_nc_u64_e32 v[12:13], v[22:23], v[20:21]
	v_mul_u64_e32 v[16:17], s[22:23], v[12:13]
	s_delay_alu instid0(VALU_DEP_1) | instskip(NEXT) | instid1(VALU_DEP_2)
	v_sub_nc_u32_e32 v7, v18, v17
	v_sub_co_u32 v11, vcc_lo, v14, v16
	s_delay_alu instid0(VALU_DEP_1) | instskip(NEXT) | instid1(VALU_DEP_3)
	v_sub_co_ci_u32_e64 v18, null, v18, v17, vcc_lo
	v_subrev_co_ci_u32_e64 v7, null, s23, v7, vcc_lo
	s_delay_alu instid0(VALU_DEP_3) | instskip(SKIP_1) | instid1(VALU_DEP_3)
	v_sub_co_u32 v14, s2, v11, s22
	v_add_nc_u64_e32 v[16:17], 1, v[12:13]
	v_subrev_co_ci_u32_e64 v7, null, 0, v7, s2
	s_delay_alu instid0(VALU_DEP_3) | instskip(SKIP_1) | instid1(VALU_DEP_3)
	v_cmp_le_u32_e32 vcc_lo, s22, v14
	v_cndmask_b32_e64 v14, 0, -1, vcc_lo
	v_cmp_le_u32_e32 vcc_lo, s23, v7
	v_cndmask_b32_e64 v15, 0, -1, vcc_lo
	v_cmp_le_u32_e32 vcc_lo, s22, v11
	v_cndmask_b32_e64 v11, 0, -1, vcc_lo
	v_cmp_le_u32_e32 vcc_lo, s23, v18
	v_cndmask_b32_e64 v19, 0, -1, vcc_lo
	v_cmp_eq_u32_e32 vcc_lo, s23, v7
	v_cndmask_b32_e32 v7, v15, v14, vcc_lo
	v_cmp_eq_u32_e32 vcc_lo, s23, v18
	v_add_nc_u64_e32 v[14:15], 2, v[12:13]
	v_cndmask_b32_e32 v11, v19, v11, vcc_lo
	s_delay_alu instid0(VALU_DEP_4) | instskip(NEXT) | instid1(VALU_DEP_2)
	v_cmp_ne_u32_e32 vcc_lo, 0, v7
	v_cmp_ne_u32_e64 s2, 0, v11
	s_delay_alu instid0(VALU_DEP_4) | instskip(NEXT) | instid1(VALU_DEP_1)
	v_dual_cndmask_b32 v7, v17, v15, vcc_lo :: v_dual_cndmask_b32 v11, v16, v14, vcc_lo
	v_dual_cndmask_b32 v7, v13, v7, s2 :: v_dual_bitop2_b32 v10, s20, v10 bitop3:0x14
	s_delay_alu instid0(VALU_DEP_1) | instskip(NEXT) | instid1(VALU_DEP_2)
	v_dual_cndmask_b32 v12, v12, v11, s2 :: v_dual_mov_b32 v11, v10
	v_xor_b32_e32 v13, v7, v10
	s_delay_alu instid0(VALU_DEP_2) | instskip(NEXT) | instid1(VALU_DEP_1)
	v_xor_b32_e32 v12, v12, v10
	v_sub_nc_u64_e32 v[10:11], v[12:13], v[10:11]
.LBB0_5:                                ;   in Loop: Header=BB0_3 Depth=1
	s_and_not1_saveexec_b32 s2, s26
	s_cbranch_execz .LBB0_7
; %bb.6:                                ;   in Loop: Header=BB0_3 Depth=1
	v_cvt_f32_u32_e32 v7, s18
	s_sub_co_i32 s20, 0, s18
	s_delay_alu instid0(VALU_DEP_1) | instskip(SKIP_1) | instid1(TRANS32_DEP_1)
	v_rcp_iflag_f32_e32 v7, v7
	v_nop
	v_mul_f32_e32 v7, 0x4f7ffffe, v7
	s_delay_alu instid0(VALU_DEP_1) | instskip(NEXT) | instid1(VALU_DEP_1)
	v_cvt_u32_f32_e32 v7, v7
	v_mul_lo_u32 v10, s20, v7
	s_delay_alu instid0(VALU_DEP_1) | instskip(NEXT) | instid1(VALU_DEP_1)
	v_mul_hi_u32 v10, v7, v10
	v_add_nc_u32_e32 v7, v7, v10
	s_delay_alu instid0(VALU_DEP_1) | instskip(NEXT) | instid1(VALU_DEP_1)
	v_mul_hi_u32 v7, v8, v7
	v_mul_lo_u32 v10, v7, s18
	s_delay_alu instid0(VALU_DEP_1) | instskip(NEXT) | instid1(VALU_DEP_1)
	v_dual_add_nc_u32 v11, 1, v7 :: v_dual_sub_nc_u32 v10, v8, v10
	v_subrev_nc_u32_e32 v12, s18, v10
	v_cmp_le_u32_e32 vcc_lo, s18, v10
	s_delay_alu instid0(VALU_DEP_2) | instskip(NEXT) | instid1(VALU_DEP_1)
	v_dual_cndmask_b32 v10, v10, v12 :: v_dual_cndmask_b32 v7, v7, v11
	v_cmp_le_u32_e32 vcc_lo, s18, v10
	s_delay_alu instid0(VALU_DEP_2) | instskip(NEXT) | instid1(VALU_DEP_1)
	v_add_nc_u32_e32 v11, 1, v7
	v_dual_cndmask_b32 v10, v7, v11 :: v_dual_mov_b32 v11, v6
.LBB0_7:                                ;   in Loop: Header=BB0_3 Depth=1
	s_or_b32 exec_lo, exec_lo, s2
	s_delay_alu instid0(VALU_DEP_1)
	v_mul_u64_e32 v[12:13], s[18:19], v[10:11]
	s_load_b64 s[18:19], s[16:17], 0xc8
	s_add_co_i32 s25, s25, -1
	s_wait_xcnt 0x0
	s_add_nc_u64 s[16:17], s[16:17], -8
	s_cmp_gt_u32 s25, 2
	s_delay_alu instid0(VALU_DEP_1) | instskip(SKIP_1) | instid1(VALU_DEP_1)
	v_sub_nc_u64_e32 v[8:9], v[8:9], v[12:13]
	s_wait_kmcnt 0x0
	v_mad_nc_u64_u32 v[4:5], s18, v8, v[4:5]
	s_delay_alu instid0(VALU_DEP_1) | instskip(NEXT) | instid1(VALU_DEP_1)
	v_mad_u32 v5, s19, v8, v5
	v_mad_u32 v5, s18, v9, v5
	s_cbranch_scc0 .LBB0_10
; %bb.8:                                ;   in Loop: Header=BB0_3 Depth=1
	v_mov_b64_e32 v[8:9], v[10:11]
	s_branch .LBB0_3
.LBB0_9:
	v_mov_b64_e32 v[10:11], v[0:1]
.LBB0_10:
	v_mul_u64_e32 v[8:9], s[12:13], v[2:3]
	v_mul_u64_e32 v[6:7], s[10:11], v[2:3]
	s_clause 0x2
	s_load_b64 s[10:11], s[0:1], 0x1a8
	s_load_b32 s3, s[8:9], 0xd0
	s_load_b64 s[12:13], s[8:9], 0x0
	s_ashr_i32 s2, s24, 31
	s_wait_xcnt 0x0
	s_load_b64 s[0:1], s[0:1], 0x0
	s_wait_kmcnt 0x0
	v_mad_u32 v5, s3, v10, v4
	s_ashr_i32 s3, s5, 31
	s_delay_alu instid0(VALU_DEP_3) | instskip(SKIP_1) | instid1(VALU_DEP_4)
	v_mul_lo_u32 v3, v9, s4
	v_mov_b32_e32 v4, 0
	v_mul_lo_u32 v7, v7, s7
	s_delay_alu instid0(VALU_DEP_3) | instskip(NEXT) | instid1(VALU_DEP_3)
	v_sub_nc_u32_e32 v3, v2, v3
	v_ashrrev_i64 v[4:5], 29, v[4:5]
	s_delay_alu instid0(VALU_DEP_3) | instskip(NEXT) | instid1(VALU_DEP_3)
	v_sub_nc_u32_e32 v7, v2, v7
	v_subrev_nc_u32_e32 v8, s4, v3
	v_cmp_le_u32_e32 vcc_lo, s4, v3
	v_add_nc_u32_e32 v6, 1, v9
	v_add_nc_u64_e32 v[4:5], s[12:13], v[4:5]
	s_delay_alu instid0(VALU_DEP_2)
	v_dual_cndmask_b32 v3, v3, v8 :: v_dual_cndmask_b32 v6, v9, v6
	v_xor_b32_e32 v9, s2, v1
	s_mov_b32 s2, s5
	global_load_b64 v[4:5], v[4:5], off
	v_cmp_le_u32_e32 vcc_lo, s4, v3
	v_add_nc_u32_e32 v8, 1, v6
	s_delay_alu instid0(VALU_DEP_1)
	v_cndmask_b32_e32 v6, v6, v8, vcc_lo
	v_cmp_le_u32_e32 vcc_lo, s7, v7
	s_wait_loadcnt 0x0
	v_mul_u64_e32 v[2:3], s[2:3], v[4:5]
	v_subrev_nc_u32_e32 v5, s7, v7
	s_mul_i32 s2, s6, s5
	s_delay_alu instid0(VALU_DEP_1) | instskip(NEXT) | instid1(VALU_DEP_1)
	v_cndmask_b32_e32 v5, v7, v5, vcc_lo
	v_cmp_le_u32_e32 vcc_lo, s7, v5
	v_xor_b32_e32 v4, v6, v9
	v_subrev_nc_u32_e32 v6, s7, v5
	s_delay_alu instid0(VALU_DEP_1) | instskip(SKIP_2) | instid1(VALU_DEP_2)
	v_dual_cndmask_b32 v6, v5, v6, vcc_lo :: v_dual_sub_nc_u32 v4, v4, v9
	v_lshl_add_u64 v[8:9], v[0:1], 2, s[0:1]
	s_mov_b32 s0, 0
	v_xor_b32_e32 v6, v6, v1
	s_delay_alu instid0(VALU_DEP_3) | instskip(NEXT) | instid1(VALU_DEP_2)
	v_mul_lo_u32 v4, s2, v4
	v_sub_nc_u32_e32 v6, v6, v1
	s_delay_alu instid0(VALU_DEP_1) | instskip(NEXT) | instid1(VALU_DEP_1)
	v_dual_ashrrev_i32 v7, 31, v6 :: v_dual_ashrrev_i32 v5, 31, v4
	v_lshl_add_u64 v[4:5], v[4:5], 2, s[10:11]
	s_delay_alu instid0(VALU_DEP_1) | instskip(NEXT) | instid1(VALU_DEP_1)
	v_lshl_add_u64 v[2:3], v[2:3], 2, v[4:5]
	v_lshl_add_u64 v[0:1], v[6:7], 2, v[2:3]
	global_load_b32 v4, v[8:9], off
	global_load_b32 v3, v[0:1], off scope:SCOPE_SYS
.LBB0_11:                               ; =>This Inner Loop Header: Depth=1
	s_wait_loadcnt 0x0
	v_mul_lo_u32 v2, v3, v4
	global_atomic_cmpswap_b32 v2, v[0:1], v[2:3], off th:TH_ATOMIC_RETURN scope:SCOPE_DEV
	s_wait_loadcnt 0x0
	v_cmp_eq_u32_e32 vcc_lo, v3, v2
	v_mov_b32_e32 v3, v2
	s_or_b32 s0, vcc_lo, s0
	s_delay_alu instid0(SALU_CYCLE_1)
	s_and_not1_b32 exec_lo, exec_lo, s0
	s_cbranch_execnz .LBB0_11
.LBB0_12:
	s_endpgm
	.section	.rodata,"a",@progbits
	.p2align	6, 0x0
	.amdhsa_kernel _Z14scatter_kernelIiL13ReductionType1EEvPKT_10TensorInfoIllEPS1_iiii
		.amdhsa_group_segment_fixed_size 0
		.amdhsa_private_segment_fixed_size 0
		.amdhsa_kernarg_size 704
		.amdhsa_user_sgpr_count 2
		.amdhsa_user_sgpr_dispatch_ptr 0
		.amdhsa_user_sgpr_queue_ptr 0
		.amdhsa_user_sgpr_kernarg_segment_ptr 1
		.amdhsa_user_sgpr_dispatch_id 0
		.amdhsa_user_sgpr_kernarg_preload_length 0
		.amdhsa_user_sgpr_kernarg_preload_offset 0
		.amdhsa_user_sgpr_private_segment_size 0
		.amdhsa_wavefront_size32 1
		.amdhsa_uses_dynamic_stack 0
		.amdhsa_enable_private_segment 0
		.amdhsa_system_sgpr_workgroup_id_x 1
		.amdhsa_system_sgpr_workgroup_id_y 0
		.amdhsa_system_sgpr_workgroup_id_z 0
		.amdhsa_system_sgpr_workgroup_info 0
		.amdhsa_system_vgpr_workitem_id 0
		.amdhsa_next_free_vgpr 24
		.amdhsa_next_free_sgpr 38
		.amdhsa_named_barrier_count 0
		.amdhsa_reserve_vcc 1
		.amdhsa_float_round_mode_32 0
		.amdhsa_float_round_mode_16_64 0
		.amdhsa_float_denorm_mode_32 3
		.amdhsa_float_denorm_mode_16_64 3
		.amdhsa_fp16_overflow 0
		.amdhsa_memory_ordered 1
		.amdhsa_forward_progress 1
		.amdhsa_inst_pref_size 12
		.amdhsa_round_robin_scheduling 0
		.amdhsa_exception_fp_ieee_invalid_op 0
		.amdhsa_exception_fp_denorm_src 0
		.amdhsa_exception_fp_ieee_div_zero 0
		.amdhsa_exception_fp_ieee_overflow 0
		.amdhsa_exception_fp_ieee_underflow 0
		.amdhsa_exception_fp_ieee_inexact 0
		.amdhsa_exception_int_div_zero 0
	.end_amdhsa_kernel
	.section	.text._Z14scatter_kernelIiL13ReductionType1EEvPKT_10TensorInfoIllEPS1_iiii,"axG",@progbits,_Z14scatter_kernelIiL13ReductionType1EEvPKT_10TensorInfoIllEPS1_iiii,comdat
.Lfunc_end0:
	.size	_Z14scatter_kernelIiL13ReductionType1EEvPKT_10TensorInfoIllEPS1_iiii, .Lfunc_end0-_Z14scatter_kernelIiL13ReductionType1EEvPKT_10TensorInfoIllEPS1_iiii
                                        ; -- End function
	.set _Z14scatter_kernelIiL13ReductionType1EEvPKT_10TensorInfoIllEPS1_iiii.num_vgpr, 24
	.set _Z14scatter_kernelIiL13ReductionType1EEvPKT_10TensorInfoIllEPS1_iiii.num_agpr, 0
	.set _Z14scatter_kernelIiL13ReductionType1EEvPKT_10TensorInfoIllEPS1_iiii.numbered_sgpr, 38
	.set _Z14scatter_kernelIiL13ReductionType1EEvPKT_10TensorInfoIllEPS1_iiii.num_named_barrier, 0
	.set _Z14scatter_kernelIiL13ReductionType1EEvPKT_10TensorInfoIllEPS1_iiii.private_seg_size, 0
	.set _Z14scatter_kernelIiL13ReductionType1EEvPKT_10TensorInfoIllEPS1_iiii.uses_vcc, 1
	.set _Z14scatter_kernelIiL13ReductionType1EEvPKT_10TensorInfoIllEPS1_iiii.uses_flat_scratch, 0
	.set _Z14scatter_kernelIiL13ReductionType1EEvPKT_10TensorInfoIllEPS1_iiii.has_dyn_sized_stack, 0
	.set _Z14scatter_kernelIiL13ReductionType1EEvPKT_10TensorInfoIllEPS1_iiii.has_recursion, 0
	.set _Z14scatter_kernelIiL13ReductionType1EEvPKT_10TensorInfoIllEPS1_iiii.has_indirect_call, 0
	.section	.AMDGPU.csdata,"",@progbits
; Kernel info:
; codeLenInByte = 1524
; TotalNumSgprs: 40
; NumVgprs: 24
; ScratchSize: 0
; MemoryBound: 0
; FloatMode: 240
; IeeeMode: 1
; LDSByteSize: 0 bytes/workgroup (compile time only)
; SGPRBlocks: 0
; VGPRBlocks: 1
; NumSGPRsForWavesPerEU: 40
; NumVGPRsForWavesPerEU: 24
; NamedBarCnt: 0
; Occupancy: 16
; WaveLimiterHint : 1
; COMPUTE_PGM_RSRC2:SCRATCH_EN: 0
; COMPUTE_PGM_RSRC2:USER_SGPR: 2
; COMPUTE_PGM_RSRC2:TRAP_HANDLER: 0
; COMPUTE_PGM_RSRC2:TGID_X_EN: 1
; COMPUTE_PGM_RSRC2:TGID_Y_EN: 0
; COMPUTE_PGM_RSRC2:TGID_Z_EN: 0
; COMPUTE_PGM_RSRC2:TIDIG_COMP_CNT: 0
	.section	.text._Z14scatter_kernelIiL13ReductionType2EEvPKT_10TensorInfoIllEPS1_iiii,"axG",@progbits,_Z14scatter_kernelIiL13ReductionType2EEvPKT_10TensorInfoIllEPS1_iiii,comdat
	.protected	_Z14scatter_kernelIiL13ReductionType2EEvPKT_10TensorInfoIllEPS1_iiii ; -- Begin function _Z14scatter_kernelIiL13ReductionType2EEvPKT_10TensorInfoIllEPS1_iiii
	.globl	_Z14scatter_kernelIiL13ReductionType2EEvPKT_10TensorInfoIllEPS1_iiii
	.p2align	8
	.type	_Z14scatter_kernelIiL13ReductionType2EEvPKT_10TensorInfoIllEPS1_iiii,@function
_Z14scatter_kernelIiL13ReductionType2EEvPKT_10TensorInfoIllEPS1_iiii: ; @_Z14scatter_kernelIiL13ReductionType2EEvPKT_10TensorInfoIllEPS1_iiii
; %bb.0:
	s_clause 0x1
	s_load_b32 s2, s[0:1], 0x1cc
	s_load_b128 s[4:7], s[0:1], 0x1b0
	s_bfe_u32 s3, ttmp6, 0x4000c
	s_and_b32 s8, ttmp6, 15
	s_add_co_i32 s3, s3, 1
	s_getreg_b32 s9, hwreg(HW_REG_IB_STS2, 6, 4)
	s_mul_i32 s3, ttmp9, s3
	s_mov_b32 s11, 0
	s_add_co_i32 s8, s8, s3
	s_wait_kmcnt 0x0
	s_and_b32 s2, s2, 0xffff
	s_cmp_eq_u32 s9, 0
	s_cselect_b32 s3, ttmp9, s8
	s_delay_alu instid0(SALU_CYCLE_1) | instskip(SKIP_1) | instid1(VALU_DEP_1)
	v_mad_u32 v0, s3, s2, v0
	s_mov_b32 s2, exec_lo
	v_cmpx_gt_i32_e64 s7, v0
	s_cbranch_execz .LBB1_12
; %bb.1:
	s_abs_i32 s7, s5
	s_mul_i32 s24, s5, s4
	s_cvt_f32_u32 s2, s7
	s_abs_i32 s4, s24
	s_load_b32 s16, s[0:1], 0x1a0
	s_cvt_f32_u32 s3, s4
	v_rcp_iflag_f32_e32 v1, s2
	s_sub_co_i32 s10, 0, s7
	s_sub_co_i32 s12, 0, s4
	v_rcp_iflag_f32_e32 v2, s3
	v_mov_b64_e32 v[4:5], 0
	s_add_nc_u64 s[8:9], s[0:1], 8
	s_mov_b32 s13, s11
	v_readfirstlane_b32 s2, v1
	v_dual_mov_b32 v6, 0 :: v_dual_sub_nc_u32 v1, 0, v0
	s_delay_alu instid0(TRANS32_DEP_1) | instskip(SKIP_3) | instid1(SALU_CYCLE_1)
	v_readfirstlane_b32 s3, v2
	s_mul_f32 s2, s2, 0x4f7ffffe
	v_dual_mov_b32 v3, v6 :: v_dual_max_i32 v2, v0, v1
	s_mul_f32 s3, s3, 0x4f7ffffe
	s_cvt_u32_f32 s2, s2
	v_ashrrev_i32_e32 v1, 31, v0
	s_delay_alu instid0(SALU_CYCLE_1) | instskip(NEXT) | instid1(SALU_CYCLE_1)
	s_cvt_u32_f32 s3, s3
	s_mul_i32 s10, s10, s2
	s_delay_alu instid0(SALU_CYCLE_1) | instskip(NEXT) | instid1(SALU_CYCLE_1)
	s_mul_hi_u32 s10, s2, s10
	s_mul_i32 s12, s12, s3
	s_add_co_i32 s10, s2, s10
	s_mul_hi_u32 s2, s3, s12
	s_delay_alu instid0(SALU_CYCLE_1)
	s_add_co_i32 s12, s3, s2
	s_wait_kmcnt 0x0
	s_cmp_lt_i32 s16, 2
	s_cbranch_scc1 .LBB1_9
; %bb.2:
	s_add_co_i32 s2, s16, -1
	s_mov_b32 s3, 0
	v_mov_b64_e32 v[4:5], 0
	v_mov_b64_e32 v[8:9], v[0:1]
	s_lshl_b64 s[18:19], s[2:3], 3
	s_mov_b64 s[14:15], 0xffffffff
	s_add_nc_u64 s[18:19], s[8:9], s[18:19]
	s_add_co_i32 s25, s16, 1
	s_add_nc_u64 s[16:17], s[18:19], 8
.LBB1_3:                                ; =>This Inner Loop Header: Depth=1
	s_load_b64 s[18:19], s[16:17], 0x0
                                        ; implicit-def: $vgpr10_vgpr11
	s_mov_b32 s2, exec_lo
	s_wait_kmcnt 0x0
	s_delay_alu instid0(VALU_DEP_1) | instskip(NEXT) | instid1(VALU_DEP_1)
	v_or_b32_e32 v7, s19, v9
	v_cmpx_ne_u64_e32 0, v[6:7]
	s_xor_b32 s26, exec_lo, s2
	s_cbranch_execz .LBB1_5
; %bb.4:                                ;   in Loop: Header=BB1_3 Depth=1
	s_ashr_i32 s20, s19, 31
	v_dual_mov_b32 v15, v6 :: v_dual_ashrrev_i32 v10, 31, v9
	s_mov_b32 s21, s20
	v_mov_b32_e32 v23, v6
	s_add_nc_u64 s[22:23], s[18:19], s[20:21]
	s_delay_alu instid0(VALU_DEP_2) | instskip(SKIP_1) | instid1(SALU_CYCLE_1)
	v_mov_b32_e32 v11, v10
	s_xor_b64 s[22:23], s[22:23], s[20:21]
	s_cvt_f32_u32 s2, s22
	s_cvt_f32_u32 s21, s23
	s_sub_nc_u64 s[30:31], 0, s[22:23]
	v_add_nc_u64_e32 v[12:13], v[8:9], v[10:11]
	v_mov_b32_e32 v19, v6
	s_fmamk_f32 s2, s21, 0x4f800000, s2
	s_delay_alu instid0(SALU_CYCLE_3) | instskip(NEXT) | instid1(VALU_DEP_2)
	v_s_rcp_f32 s2, s2
	v_xor_b32_e32 v14, v12, v10
	s_delay_alu instid0(VALU_DEP_3) | instskip(NEXT) | instid1(TRANS32_DEP_1)
	v_xor_b32_e32 v18, v13, v10
	s_mul_f32 s2, s2, 0x5f7ffffc
	s_delay_alu instid0(SALU_CYCLE_3) | instskip(NEXT) | instid1(SALU_CYCLE_3)
	s_mul_f32 s21, s2, 0x2f800000
	s_trunc_f32 s21, s21
	s_delay_alu instid0(SALU_CYCLE_3) | instskip(SKIP_1) | instid1(SALU_CYCLE_2)
	s_fmamk_f32 s2, s21, 0xcf800000, s2
	s_cvt_u32_f32 s29, s21
	s_cvt_u32_f32 s28, s2
	s_delay_alu instid0(SALU_CYCLE_3) | instskip(NEXT) | instid1(SALU_CYCLE_1)
	s_mul_u64 s[34:35], s[30:31], s[28:29]
	s_mul_hi_u32 s37, s28, s35
	s_mul_i32 s36, s28, s35
	s_mul_hi_u32 s2, s28, s34
	s_mul_i32 s27, s29, s34
	s_add_nc_u64 s[36:37], s[2:3], s[36:37]
	s_mul_hi_u32 s21, s29, s34
	s_mul_hi_u32 s33, s29, s35
	s_add_co_u32 s2, s36, s27
	s_add_co_ci_u32 s2, s37, s21
	s_mul_i32 s34, s29, s35
	s_add_co_ci_u32 s35, s33, 0
	s_delay_alu instid0(SALU_CYCLE_1) | instskip(NEXT) | instid1(SALU_CYCLE_1)
	s_add_nc_u64 s[34:35], s[2:3], s[34:35]
	s_add_co_u32 s28, s28, s34
	s_cselect_b32 s2, -1, 0
	s_delay_alu instid0(SALU_CYCLE_1) | instskip(SKIP_1) | instid1(SALU_CYCLE_1)
	s_cmp_lg_u32 s2, 0
	s_add_co_ci_u32 s29, s29, s35
	s_mul_u64 s[30:31], s[30:31], s[28:29]
	s_delay_alu instid0(SALU_CYCLE_1)
	s_mul_hi_u32 s35, s28, s31
	s_mul_i32 s34, s28, s31
	s_mul_hi_u32 s2, s28, s30
	s_mul_i32 s27, s29, s30
	s_add_nc_u64 s[34:35], s[2:3], s[34:35]
	s_mul_hi_u32 s21, s29, s30
	s_mul_hi_u32 s33, s29, s31
	s_add_co_u32 s2, s34, s27
	s_add_co_ci_u32 s2, s35, s21
	s_mul_i32 s30, s29, s31
	s_add_co_ci_u32 s31, s33, 0
	s_delay_alu instid0(SALU_CYCLE_1) | instskip(NEXT) | instid1(SALU_CYCLE_1)
	s_add_nc_u64 s[30:31], s[2:3], s[30:31]
	s_add_co_u32 s28, s28, s30
	s_cselect_b32 s2, -1, 0
	v_mul_hi_u32 v22, v14, s28
	s_cmp_lg_u32 s2, 0
	s_add_co_ci_u32 s2, s29, s31
	s_and_b64 s[30:31], s[28:29], s[14:15]
	v_mul_u64_e32 v[16:17], s[2:3], v[14:15]
	v_mul_u64_e32 v[12:13], s[30:31], v[18:19]
	;; [unrolled: 1-line block ×3, first 2 shown]
	s_delay_alu instid0(VALU_DEP_3) | instskip(NEXT) | instid1(VALU_DEP_1)
	v_add_nc_u64_e32 v[16:17], v[22:23], v[16:17]
	v_add_co_u32 v7, vcc_lo, v16, v12
	s_delay_alu instid0(VALU_DEP_2) | instskip(NEXT) | instid1(VALU_DEP_4)
	v_add_co_ci_u32_e32 v22, vcc_lo, v17, v13, vcc_lo
	v_add_co_ci_u32_e32 v21, vcc_lo, 0, v21, vcc_lo
	s_delay_alu instid0(VALU_DEP_1) | instskip(NEXT) | instid1(VALU_DEP_1)
	v_add_nc_u64_e32 v[12:13], v[22:23], v[20:21]
	v_mul_u64_e32 v[16:17], s[22:23], v[12:13]
	s_delay_alu instid0(VALU_DEP_1) | instskip(NEXT) | instid1(VALU_DEP_2)
	v_sub_nc_u32_e32 v7, v18, v17
	v_sub_co_u32 v11, vcc_lo, v14, v16
	s_delay_alu instid0(VALU_DEP_1) | instskip(NEXT) | instid1(VALU_DEP_3)
	v_sub_co_ci_u32_e64 v18, null, v18, v17, vcc_lo
	v_subrev_co_ci_u32_e64 v7, null, s23, v7, vcc_lo
	s_delay_alu instid0(VALU_DEP_3) | instskip(SKIP_1) | instid1(VALU_DEP_3)
	v_sub_co_u32 v14, s2, v11, s22
	v_add_nc_u64_e32 v[16:17], 1, v[12:13]
	v_subrev_co_ci_u32_e64 v7, null, 0, v7, s2
	s_delay_alu instid0(VALU_DEP_3) | instskip(SKIP_1) | instid1(VALU_DEP_3)
	v_cmp_le_u32_e32 vcc_lo, s22, v14
	v_cndmask_b32_e64 v14, 0, -1, vcc_lo
	v_cmp_le_u32_e32 vcc_lo, s23, v7
	v_cndmask_b32_e64 v15, 0, -1, vcc_lo
	;; [unrolled: 2-line block ×4, first 2 shown]
	v_cmp_eq_u32_e32 vcc_lo, s23, v7
	v_cndmask_b32_e32 v7, v15, v14, vcc_lo
	v_cmp_eq_u32_e32 vcc_lo, s23, v18
	v_add_nc_u64_e32 v[14:15], 2, v[12:13]
	v_cndmask_b32_e32 v11, v19, v11, vcc_lo
	s_delay_alu instid0(VALU_DEP_4) | instskip(NEXT) | instid1(VALU_DEP_2)
	v_cmp_ne_u32_e32 vcc_lo, 0, v7
	v_cmp_ne_u32_e64 s2, 0, v11
	s_delay_alu instid0(VALU_DEP_4) | instskip(NEXT) | instid1(VALU_DEP_1)
	v_dual_cndmask_b32 v7, v17, v15, vcc_lo :: v_dual_cndmask_b32 v11, v16, v14, vcc_lo
	v_dual_cndmask_b32 v7, v13, v7, s2 :: v_dual_bitop2_b32 v10, s20, v10 bitop3:0x14
	s_delay_alu instid0(VALU_DEP_1) | instskip(NEXT) | instid1(VALU_DEP_2)
	v_dual_cndmask_b32 v12, v12, v11, s2 :: v_dual_mov_b32 v11, v10
	v_xor_b32_e32 v13, v7, v10
	s_delay_alu instid0(VALU_DEP_2) | instskip(NEXT) | instid1(VALU_DEP_1)
	v_xor_b32_e32 v12, v12, v10
	v_sub_nc_u64_e32 v[10:11], v[12:13], v[10:11]
.LBB1_5:                                ;   in Loop: Header=BB1_3 Depth=1
	s_and_not1_saveexec_b32 s2, s26
	s_cbranch_execz .LBB1_7
; %bb.6:                                ;   in Loop: Header=BB1_3 Depth=1
	v_cvt_f32_u32_e32 v7, s18
	s_sub_co_i32 s20, 0, s18
	s_delay_alu instid0(VALU_DEP_1) | instskip(SKIP_1) | instid1(TRANS32_DEP_1)
	v_rcp_iflag_f32_e32 v7, v7
	v_nop
	v_mul_f32_e32 v7, 0x4f7ffffe, v7
	s_delay_alu instid0(VALU_DEP_1) | instskip(NEXT) | instid1(VALU_DEP_1)
	v_cvt_u32_f32_e32 v7, v7
	v_mul_lo_u32 v10, s20, v7
	s_delay_alu instid0(VALU_DEP_1) | instskip(NEXT) | instid1(VALU_DEP_1)
	v_mul_hi_u32 v10, v7, v10
	v_add_nc_u32_e32 v7, v7, v10
	s_delay_alu instid0(VALU_DEP_1) | instskip(NEXT) | instid1(VALU_DEP_1)
	v_mul_hi_u32 v7, v8, v7
	v_mul_lo_u32 v10, v7, s18
	s_delay_alu instid0(VALU_DEP_1) | instskip(NEXT) | instid1(VALU_DEP_1)
	v_dual_add_nc_u32 v11, 1, v7 :: v_dual_sub_nc_u32 v10, v8, v10
	v_subrev_nc_u32_e32 v12, s18, v10
	v_cmp_le_u32_e32 vcc_lo, s18, v10
	s_delay_alu instid0(VALU_DEP_2) | instskip(NEXT) | instid1(VALU_DEP_1)
	v_dual_cndmask_b32 v10, v10, v12 :: v_dual_cndmask_b32 v7, v7, v11
	v_cmp_le_u32_e32 vcc_lo, s18, v10
	s_delay_alu instid0(VALU_DEP_2) | instskip(NEXT) | instid1(VALU_DEP_1)
	v_add_nc_u32_e32 v11, 1, v7
	v_dual_cndmask_b32 v10, v7, v11 :: v_dual_mov_b32 v11, v6
.LBB1_7:                                ;   in Loop: Header=BB1_3 Depth=1
	s_or_b32 exec_lo, exec_lo, s2
	s_delay_alu instid0(VALU_DEP_1)
	v_mul_u64_e32 v[12:13], s[18:19], v[10:11]
	s_load_b64 s[18:19], s[16:17], 0xc8
	s_add_co_i32 s25, s25, -1
	s_wait_xcnt 0x0
	s_add_nc_u64 s[16:17], s[16:17], -8
	s_cmp_gt_u32 s25, 2
	s_delay_alu instid0(VALU_DEP_1) | instskip(SKIP_1) | instid1(VALU_DEP_1)
	v_sub_nc_u64_e32 v[8:9], v[8:9], v[12:13]
	s_wait_kmcnt 0x0
	v_mad_nc_u64_u32 v[4:5], s18, v8, v[4:5]
	s_delay_alu instid0(VALU_DEP_1) | instskip(NEXT) | instid1(VALU_DEP_1)
	v_mad_u32 v5, s19, v8, v5
	v_mad_u32 v5, s18, v9, v5
	s_cbranch_scc0 .LBB1_10
; %bb.8:                                ;   in Loop: Header=BB1_3 Depth=1
	v_mov_b64_e32 v[8:9], v[10:11]
	s_branch .LBB1_3
.LBB1_9:
	v_mov_b64_e32 v[10:11], v[0:1]
.LBB1_10:
	v_mul_u64_e32 v[6:7], s[12:13], v[2:3]
	v_mul_u64_e32 v[8:9], s[10:11], v[2:3]
	s_clause 0x2
	s_load_b64 s[10:11], s[0:1], 0x1a8
	s_load_b32 s3, s[8:9], 0xd0
	s_load_b64 s[12:13], s[8:9], 0x0
	s_ashr_i32 s2, s24, 31
	s_wait_xcnt 0x0
	s_load_b64 s[0:1], s[0:1], 0x0
	s_wait_kmcnt 0x0
	v_mad_u32 v5, s3, v10, v4
	v_lshl_add_u64 v[10:11], v[0:1], 2, s[0:1]
	s_ashr_i32 s1, s5, 31
	s_mov_b32 s0, s5
	global_load_b32 v10, v[10:11], off
	v_mul_lo_u32 v6, v7, s4
	v_mov_b32_e32 v3, 0
	v_mul_lo_u32 v8, v9, s7
	s_delay_alu instid0(VALU_DEP_2) | instskip(SKIP_1) | instid1(VALU_DEP_2)
	v_dual_sub_nc_u32 v0, v2, v6 :: v_dual_mov_b32 v4, v3
	v_add_nc_u32_e32 v6, 1, v7
	v_subrev_nc_u32_e32 v9, s4, v0
	s_delay_alu instid0(VALU_DEP_3) | instskip(SKIP_1) | instid1(VALU_DEP_3)
	v_ashrrev_i64 v[4:5], 29, v[4:5]
	v_cmp_le_u32_e32 vcc_lo, s4, v0
	v_dual_cndmask_b32 v6, v7, v6, vcc_lo :: v_dual_cndmask_b32 v0, v0, v9, vcc_lo
	s_delay_alu instid0(VALU_DEP_3) | instskip(NEXT) | instid1(VALU_DEP_2)
	v_add_nc_u64_e32 v[4:5], s[12:13], v[4:5]
	v_dual_add_nc_u32 v7, 1, v6 :: v_dual_bitop2_b32 v9, s2, v1 bitop3:0x14
	s_delay_alu instid0(VALU_DEP_3) | instskip(SKIP_2) | instid1(VALU_DEP_1)
	v_cmp_le_u32_e32 vcc_lo, s4, v0
	global_load_b64 v[4:5], v[4:5], off
	v_cndmask_b32_e32 v0, v6, v7, vcc_lo
	v_dual_sub_nc_u32 v2, v2, v8 :: v_dual_bitop2_b32 v0, v0, v9 bitop3:0x14
	s_delay_alu instid0(VALU_DEP_1) | instskip(SKIP_1) | instid1(VALU_DEP_2)
	v_subrev_nc_u32_e32 v6, s7, v2
	v_cmp_le_u32_e32 vcc_lo, s7, v2
	v_dual_sub_nc_u32 v0, v0, v9 :: v_dual_cndmask_b32 v2, v2, v6, vcc_lo
	s_delay_alu instid0(VALU_DEP_1)
	v_cmp_le_u32_e32 vcc_lo, s7, v2
	s_wait_loadcnt 0x1
	v_ashrrev_i32_e32 v9, 31, v10
	s_wait_loadcnt 0x0
	v_mul_u64_e32 v[4:5], s[0:1], v[4:5]
	s_mul_i32 s0, s6, s5
	s_delay_alu instid0(SALU_CYCLE_1) | instskip(SKIP_2) | instid1(VALU_DEP_1)
	v_mul_lo_u32 v6, s0, v0
	v_subrev_nc_u32_e32 v0, s7, v2
	s_mov_b32 s0, 0
	v_dual_cndmask_b32 v0, v2, v0, vcc_lo :: v_dual_sub_nc_u32 v2, 0, v10
	s_delay_alu instid0(VALU_DEP_3) | instskip(NEXT) | instid1(VALU_DEP_2)
	v_ashrrev_i32_e32 v7, 31, v6
	v_max_i32_e32 v8, v10, v2
	s_delay_alu instid0(VALU_DEP_2) | instskip(NEXT) | instid1(VALU_DEP_1)
	v_lshl_add_u64 v[6:7], v[6:7], 2, s[10:11]
	v_lshl_add_u64 v[4:5], v[4:5], 2, v[6:7]
	v_dual_mov_b32 v7, v3 :: v_dual_bitop2_b32 v0, v0, v1 bitop3:0x14
	s_delay_alu instid0(VALU_DEP_4) | instskip(NEXT) | instid1(VALU_DEP_2)
	v_cvt_f32_u32_e32 v2, v8
	v_sub_nc_u32_e32 v0, v0, v1
	s_delay_alu instid0(VALU_DEP_2) | instskip(SKIP_1) | instid1(TRANS32_DEP_1)
	v_rcp_iflag_f32_e32 v2, v2
	v_nop
	v_dual_mul_f32 v2, 0x4f7ffffe, v2 :: v_dual_ashrrev_i32 v1, 31, v0
	s_delay_alu instid0(VALU_DEP_1) | instskip(SKIP_1) | instid1(VALU_DEP_3)
	v_lshl_add_u64 v[0:1], v[0:1], 2, v[4:5]
	v_sub_nc_u32_e32 v4, 0, v8
	v_cvt_u32_f32_e32 v2, v2
	global_load_b32 v5, v[0:1], off scope:SCOPE_SYS
	v_mul_lo_u32 v4, v4, v2
	s_delay_alu instid0(VALU_DEP_1) | instskip(NEXT) | instid1(VALU_DEP_1)
	v_mul_hi_u32 v4, v2, v4
	v_add_nc_u32_e32 v6, v2, v4
.LBB1_11:                               ; =>This Inner Loop Header: Depth=1
	s_wait_loadcnt 0x0
	v_sub_nc_u32_e32 v2, 0, v5
	s_delay_alu instid0(VALU_DEP_1) | instskip(NEXT) | instid1(VALU_DEP_1)
	v_max_i32_e32 v2, v5, v2
	v_mul_u64_e32 v[10:11], v[2:3], v[6:7]
	s_delay_alu instid0(VALU_DEP_1) | instskip(NEXT) | instid1(VALU_DEP_1)
	v_mul_lo_u32 v4, v11, v8
	v_dual_add_nc_u32 v10, 1, v11 :: v_dual_sub_nc_u32 v2, v2, v4
	s_delay_alu instid0(VALU_DEP_1) | instskip(NEXT) | instid1(VALU_DEP_2)
	v_cmp_ge_u32_e32 vcc_lo, v2, v8
	v_dual_cndmask_b32 v10, v11, v10 :: v_dual_ashrrev_i32 v11, 31, v5
	s_delay_alu instid0(VALU_DEP_1) | instskip(NEXT) | instid1(VALU_DEP_1)
	v_dual_sub_nc_u32 v4, v2, v8 :: v_dual_bitop2_b32 v11, v11, v9 bitop3:0x14
	v_dual_cndmask_b32 v2, v2, v4, vcc_lo :: v_dual_add_nc_u32 v4, 1, v10
	s_delay_alu instid0(VALU_DEP_1) | instskip(NEXT) | instid1(VALU_DEP_2)
	v_cmp_ge_u32_e32 vcc_lo, v2, v8
	v_cndmask_b32_e32 v2, v10, v4, vcc_lo
	s_delay_alu instid0(VALU_DEP_1) | instskip(NEXT) | instid1(VALU_DEP_1)
	v_xor_b32_e32 v2, v2, v11
	v_sub_nc_u32_e32 v4, v2, v11
	global_atomic_cmpswap_b32 v2, v[0:1], v[4:5], off th:TH_ATOMIC_RETURN scope:SCOPE_DEV
	s_wait_loadcnt 0x0
	v_cmp_eq_u32_e32 vcc_lo, v5, v2
	v_mov_b32_e32 v5, v2
	s_or_b32 s0, vcc_lo, s0
	s_delay_alu instid0(SALU_CYCLE_1)
	s_and_not1_b32 exec_lo, exec_lo, s0
	s_cbranch_execnz .LBB1_11
.LBB1_12:
	s_endpgm
	.section	.rodata,"a",@progbits
	.p2align	6, 0x0
	.amdhsa_kernel _Z14scatter_kernelIiL13ReductionType2EEvPKT_10TensorInfoIllEPS1_iiii
		.amdhsa_group_segment_fixed_size 0
		.amdhsa_private_segment_fixed_size 0
		.amdhsa_kernarg_size 704
		.amdhsa_user_sgpr_count 2
		.amdhsa_user_sgpr_dispatch_ptr 0
		.amdhsa_user_sgpr_queue_ptr 0
		.amdhsa_user_sgpr_kernarg_segment_ptr 1
		.amdhsa_user_sgpr_dispatch_id 0
		.amdhsa_user_sgpr_kernarg_preload_length 0
		.amdhsa_user_sgpr_kernarg_preload_offset 0
		.amdhsa_user_sgpr_private_segment_size 0
		.amdhsa_wavefront_size32 1
		.amdhsa_uses_dynamic_stack 0
		.amdhsa_enable_private_segment 0
		.amdhsa_system_sgpr_workgroup_id_x 1
		.amdhsa_system_sgpr_workgroup_id_y 0
		.amdhsa_system_sgpr_workgroup_id_z 0
		.amdhsa_system_sgpr_workgroup_info 0
		.amdhsa_system_vgpr_workitem_id 0
		.amdhsa_next_free_vgpr 24
		.amdhsa_next_free_sgpr 38
		.amdhsa_named_barrier_count 0
		.amdhsa_reserve_vcc 1
		.amdhsa_float_round_mode_32 0
		.amdhsa_float_round_mode_16_64 0
		.amdhsa_float_denorm_mode_32 3
		.amdhsa_float_denorm_mode_16_64 3
		.amdhsa_fp16_overflow 0
		.amdhsa_memory_ordered 1
		.amdhsa_forward_progress 1
		.amdhsa_inst_pref_size 14
		.amdhsa_round_robin_scheduling 0
		.amdhsa_exception_fp_ieee_invalid_op 0
		.amdhsa_exception_fp_denorm_src 0
		.amdhsa_exception_fp_ieee_div_zero 0
		.amdhsa_exception_fp_ieee_overflow 0
		.amdhsa_exception_fp_ieee_underflow 0
		.amdhsa_exception_fp_ieee_inexact 0
		.amdhsa_exception_int_div_zero 0
	.end_amdhsa_kernel
	.section	.text._Z14scatter_kernelIiL13ReductionType2EEvPKT_10TensorInfoIllEPS1_iiii,"axG",@progbits,_Z14scatter_kernelIiL13ReductionType2EEvPKT_10TensorInfoIllEPS1_iiii,comdat
.Lfunc_end1:
	.size	_Z14scatter_kernelIiL13ReductionType2EEvPKT_10TensorInfoIllEPS1_iiii, .Lfunc_end1-_Z14scatter_kernelIiL13ReductionType2EEvPKT_10TensorInfoIllEPS1_iiii
                                        ; -- End function
	.set _Z14scatter_kernelIiL13ReductionType2EEvPKT_10TensorInfoIllEPS1_iiii.num_vgpr, 24
	.set _Z14scatter_kernelIiL13ReductionType2EEvPKT_10TensorInfoIllEPS1_iiii.num_agpr, 0
	.set _Z14scatter_kernelIiL13ReductionType2EEvPKT_10TensorInfoIllEPS1_iiii.numbered_sgpr, 38
	.set _Z14scatter_kernelIiL13ReductionType2EEvPKT_10TensorInfoIllEPS1_iiii.num_named_barrier, 0
	.set _Z14scatter_kernelIiL13ReductionType2EEvPKT_10TensorInfoIllEPS1_iiii.private_seg_size, 0
	.set _Z14scatter_kernelIiL13ReductionType2EEvPKT_10TensorInfoIllEPS1_iiii.uses_vcc, 1
	.set _Z14scatter_kernelIiL13ReductionType2EEvPKT_10TensorInfoIllEPS1_iiii.uses_flat_scratch, 0
	.set _Z14scatter_kernelIiL13ReductionType2EEvPKT_10TensorInfoIllEPS1_iiii.has_dyn_sized_stack, 0
	.set _Z14scatter_kernelIiL13ReductionType2EEvPKT_10TensorInfoIllEPS1_iiii.has_recursion, 0
	.set _Z14scatter_kernelIiL13ReductionType2EEvPKT_10TensorInfoIllEPS1_iiii.has_indirect_call, 0
	.section	.AMDGPU.csdata,"",@progbits
; Kernel info:
; codeLenInByte = 1728
; TotalNumSgprs: 40
; NumVgprs: 24
; ScratchSize: 0
; MemoryBound: 0
; FloatMode: 240
; IeeeMode: 1
; LDSByteSize: 0 bytes/workgroup (compile time only)
; SGPRBlocks: 0
; VGPRBlocks: 1
; NumSGPRsForWavesPerEU: 40
; NumVGPRsForWavesPerEU: 24
; NamedBarCnt: 0
; Occupancy: 16
; WaveLimiterHint : 1
; COMPUTE_PGM_RSRC2:SCRATCH_EN: 0
; COMPUTE_PGM_RSRC2:USER_SGPR: 2
; COMPUTE_PGM_RSRC2:TRAP_HANDLER: 0
; COMPUTE_PGM_RSRC2:TGID_X_EN: 1
; COMPUTE_PGM_RSRC2:TGID_Y_EN: 0
; COMPUTE_PGM_RSRC2:TGID_Z_EN: 0
; COMPUTE_PGM_RSRC2:TIDIG_COMP_CNT: 0
	.section	.text._Z14scatter_kernelIiL13ReductionType0EEvPKT_10TensorInfoIllEPS1_iiii,"axG",@progbits,_Z14scatter_kernelIiL13ReductionType0EEvPKT_10TensorInfoIllEPS1_iiii,comdat
	.protected	_Z14scatter_kernelIiL13ReductionType0EEvPKT_10TensorInfoIllEPS1_iiii ; -- Begin function _Z14scatter_kernelIiL13ReductionType0EEvPKT_10TensorInfoIllEPS1_iiii
	.globl	_Z14scatter_kernelIiL13ReductionType0EEvPKT_10TensorInfoIllEPS1_iiii
	.p2align	8
	.type	_Z14scatter_kernelIiL13ReductionType0EEvPKT_10TensorInfoIllEPS1_iiii,@function
_Z14scatter_kernelIiL13ReductionType0EEvPKT_10TensorInfoIllEPS1_iiii: ; @_Z14scatter_kernelIiL13ReductionType0EEvPKT_10TensorInfoIllEPS1_iiii
; %bb.0:
	s_clause 0x1
	s_load_b32 s2, s[0:1], 0x1cc
	s_load_b128 s[4:7], s[0:1], 0x1b0
	s_bfe_u32 s3, ttmp6, 0x4000c
	s_and_b32 s8, ttmp6, 15
	s_add_co_i32 s3, s3, 1
	s_getreg_b32 s9, hwreg(HW_REG_IB_STS2, 6, 4)
	s_mul_i32 s3, ttmp9, s3
	s_mov_b32 s11, 0
	s_add_co_i32 s8, s8, s3
	s_wait_kmcnt 0x0
	s_and_b32 s2, s2, 0xffff
	s_cmp_eq_u32 s9, 0
	s_cselect_b32 s3, ttmp9, s8
	s_delay_alu instid0(SALU_CYCLE_1) | instskip(SKIP_1) | instid1(VALU_DEP_1)
	v_mad_u32 v0, s3, s2, v0
	s_mov_b32 s2, exec_lo
	v_cmpx_gt_i32_e64 s7, v0
	s_cbranch_execz .LBB2_11
; %bb.1:
	s_abs_i32 s7, s5
	s_mul_i32 s24, s5, s4
	s_cvt_f32_u32 s2, s7
	s_abs_i32 s4, s24
	s_load_b32 s16, s[0:1], 0x1a0
	s_cvt_f32_u32 s3, s4
	v_rcp_iflag_f32_e32 v1, s2
	s_sub_co_i32 s10, 0, s7
	s_sub_co_i32 s12, 0, s4
	v_rcp_iflag_f32_e32 v2, s3
	v_mov_b64_e32 v[4:5], 0
	s_add_nc_u64 s[8:9], s[0:1], 8
	s_mov_b32 s13, s11
	v_readfirstlane_b32 s2, v1
	v_dual_mov_b32 v6, 0 :: v_dual_sub_nc_u32 v1, 0, v0
	s_delay_alu instid0(TRANS32_DEP_1) | instskip(SKIP_3) | instid1(SALU_CYCLE_1)
	v_readfirstlane_b32 s3, v2
	s_mul_f32 s2, s2, 0x4f7ffffe
	v_dual_mov_b32 v3, v6 :: v_dual_max_i32 v2, v0, v1
	s_mul_f32 s3, s3, 0x4f7ffffe
	s_cvt_u32_f32 s2, s2
	v_ashrrev_i32_e32 v1, 31, v0
	s_delay_alu instid0(SALU_CYCLE_1) | instskip(NEXT) | instid1(SALU_CYCLE_1)
	s_cvt_u32_f32 s3, s3
	s_mul_i32 s10, s10, s2
	s_delay_alu instid0(SALU_CYCLE_1) | instskip(NEXT) | instid1(SALU_CYCLE_1)
	s_mul_hi_u32 s10, s2, s10
	s_mul_i32 s12, s12, s3
	s_add_co_i32 s10, s2, s10
	s_mul_hi_u32 s2, s3, s12
	s_delay_alu instid0(SALU_CYCLE_1)
	s_add_co_i32 s12, s3, s2
	s_wait_kmcnt 0x0
	s_cmp_lt_i32 s16, 2
	s_cbranch_scc1 .LBB2_9
; %bb.2:
	s_add_co_i32 s2, s16, -1
	s_mov_b32 s3, 0
	v_mov_b64_e32 v[4:5], 0
	v_mov_b64_e32 v[8:9], v[0:1]
	s_lshl_b64 s[18:19], s[2:3], 3
	s_mov_b64 s[14:15], 0xffffffff
	s_add_nc_u64 s[18:19], s[8:9], s[18:19]
	s_add_co_i32 s25, s16, 1
	s_add_nc_u64 s[16:17], s[18:19], 8
.LBB2_3:                                ; =>This Inner Loop Header: Depth=1
	s_load_b64 s[18:19], s[16:17], 0x0
                                        ; implicit-def: $vgpr10_vgpr11
	s_mov_b32 s2, exec_lo
	s_wait_kmcnt 0x0
	s_delay_alu instid0(VALU_DEP_1) | instskip(NEXT) | instid1(VALU_DEP_1)
	v_or_b32_e32 v7, s19, v9
	v_cmpx_ne_u64_e32 0, v[6:7]
	s_xor_b32 s26, exec_lo, s2
	s_cbranch_execz .LBB2_5
; %bb.4:                                ;   in Loop: Header=BB2_3 Depth=1
	s_ashr_i32 s20, s19, 31
	v_dual_mov_b32 v15, v6 :: v_dual_ashrrev_i32 v10, 31, v9
	s_mov_b32 s21, s20
	v_mov_b32_e32 v23, v6
	s_add_nc_u64 s[22:23], s[18:19], s[20:21]
	s_delay_alu instid0(VALU_DEP_2) | instskip(SKIP_1) | instid1(SALU_CYCLE_1)
	v_mov_b32_e32 v11, v10
	s_xor_b64 s[22:23], s[22:23], s[20:21]
	s_cvt_f32_u32 s2, s22
	s_cvt_f32_u32 s21, s23
	s_sub_nc_u64 s[30:31], 0, s[22:23]
	v_add_nc_u64_e32 v[12:13], v[8:9], v[10:11]
	v_mov_b32_e32 v19, v6
	s_fmamk_f32 s2, s21, 0x4f800000, s2
	s_delay_alu instid0(SALU_CYCLE_3) | instskip(NEXT) | instid1(VALU_DEP_2)
	v_s_rcp_f32 s2, s2
	v_xor_b32_e32 v14, v12, v10
	s_delay_alu instid0(VALU_DEP_3) | instskip(NEXT) | instid1(TRANS32_DEP_1)
	v_xor_b32_e32 v18, v13, v10
	s_mul_f32 s2, s2, 0x5f7ffffc
	s_delay_alu instid0(SALU_CYCLE_3) | instskip(NEXT) | instid1(SALU_CYCLE_3)
	s_mul_f32 s21, s2, 0x2f800000
	s_trunc_f32 s21, s21
	s_delay_alu instid0(SALU_CYCLE_3) | instskip(SKIP_1) | instid1(SALU_CYCLE_2)
	s_fmamk_f32 s2, s21, 0xcf800000, s2
	s_cvt_u32_f32 s29, s21
	s_cvt_u32_f32 s28, s2
	s_delay_alu instid0(SALU_CYCLE_3) | instskip(NEXT) | instid1(SALU_CYCLE_1)
	s_mul_u64 s[34:35], s[30:31], s[28:29]
	s_mul_hi_u32 s37, s28, s35
	s_mul_i32 s36, s28, s35
	s_mul_hi_u32 s2, s28, s34
	s_mul_i32 s27, s29, s34
	s_add_nc_u64 s[36:37], s[2:3], s[36:37]
	s_mul_hi_u32 s21, s29, s34
	s_mul_hi_u32 s33, s29, s35
	s_add_co_u32 s2, s36, s27
	s_add_co_ci_u32 s2, s37, s21
	s_mul_i32 s34, s29, s35
	s_add_co_ci_u32 s35, s33, 0
	s_delay_alu instid0(SALU_CYCLE_1) | instskip(NEXT) | instid1(SALU_CYCLE_1)
	s_add_nc_u64 s[34:35], s[2:3], s[34:35]
	s_add_co_u32 s28, s28, s34
	s_cselect_b32 s2, -1, 0
	s_delay_alu instid0(SALU_CYCLE_1) | instskip(SKIP_1) | instid1(SALU_CYCLE_1)
	s_cmp_lg_u32 s2, 0
	s_add_co_ci_u32 s29, s29, s35
	s_mul_u64 s[30:31], s[30:31], s[28:29]
	s_delay_alu instid0(SALU_CYCLE_1)
	s_mul_hi_u32 s35, s28, s31
	s_mul_i32 s34, s28, s31
	s_mul_hi_u32 s2, s28, s30
	s_mul_i32 s27, s29, s30
	s_add_nc_u64 s[34:35], s[2:3], s[34:35]
	s_mul_hi_u32 s21, s29, s30
	s_mul_hi_u32 s33, s29, s31
	s_add_co_u32 s2, s34, s27
	s_add_co_ci_u32 s2, s35, s21
	s_mul_i32 s30, s29, s31
	s_add_co_ci_u32 s31, s33, 0
	s_delay_alu instid0(SALU_CYCLE_1) | instskip(NEXT) | instid1(SALU_CYCLE_1)
	s_add_nc_u64 s[30:31], s[2:3], s[30:31]
	s_add_co_u32 s28, s28, s30
	s_cselect_b32 s2, -1, 0
	v_mul_hi_u32 v22, v14, s28
	s_cmp_lg_u32 s2, 0
	s_add_co_ci_u32 s2, s29, s31
	s_and_b64 s[30:31], s[28:29], s[14:15]
	v_mul_u64_e32 v[16:17], s[2:3], v[14:15]
	v_mul_u64_e32 v[12:13], s[30:31], v[18:19]
	;; [unrolled: 1-line block ×3, first 2 shown]
	s_delay_alu instid0(VALU_DEP_3) | instskip(NEXT) | instid1(VALU_DEP_1)
	v_add_nc_u64_e32 v[16:17], v[22:23], v[16:17]
	v_add_co_u32 v7, vcc_lo, v16, v12
	s_delay_alu instid0(VALU_DEP_2) | instskip(NEXT) | instid1(VALU_DEP_4)
	v_add_co_ci_u32_e32 v22, vcc_lo, v17, v13, vcc_lo
	v_add_co_ci_u32_e32 v21, vcc_lo, 0, v21, vcc_lo
	s_delay_alu instid0(VALU_DEP_1) | instskip(NEXT) | instid1(VALU_DEP_1)
	v_add_nc_u64_e32 v[12:13], v[22:23], v[20:21]
	v_mul_u64_e32 v[16:17], s[22:23], v[12:13]
	s_delay_alu instid0(VALU_DEP_1) | instskip(NEXT) | instid1(VALU_DEP_2)
	v_sub_nc_u32_e32 v7, v18, v17
	v_sub_co_u32 v11, vcc_lo, v14, v16
	s_delay_alu instid0(VALU_DEP_1) | instskip(NEXT) | instid1(VALU_DEP_3)
	v_sub_co_ci_u32_e64 v18, null, v18, v17, vcc_lo
	v_subrev_co_ci_u32_e64 v7, null, s23, v7, vcc_lo
	s_delay_alu instid0(VALU_DEP_3) | instskip(SKIP_1) | instid1(VALU_DEP_3)
	v_sub_co_u32 v14, s2, v11, s22
	v_add_nc_u64_e32 v[16:17], 1, v[12:13]
	v_subrev_co_ci_u32_e64 v7, null, 0, v7, s2
	s_delay_alu instid0(VALU_DEP_3) | instskip(SKIP_1) | instid1(VALU_DEP_3)
	v_cmp_le_u32_e32 vcc_lo, s22, v14
	v_cndmask_b32_e64 v14, 0, -1, vcc_lo
	v_cmp_le_u32_e32 vcc_lo, s23, v7
	v_cndmask_b32_e64 v15, 0, -1, vcc_lo
	;; [unrolled: 2-line block ×4, first 2 shown]
	v_cmp_eq_u32_e32 vcc_lo, s23, v7
	v_cndmask_b32_e32 v7, v15, v14, vcc_lo
	v_cmp_eq_u32_e32 vcc_lo, s23, v18
	v_add_nc_u64_e32 v[14:15], 2, v[12:13]
	v_cndmask_b32_e32 v11, v19, v11, vcc_lo
	s_delay_alu instid0(VALU_DEP_4) | instskip(NEXT) | instid1(VALU_DEP_2)
	v_cmp_ne_u32_e32 vcc_lo, 0, v7
	v_cmp_ne_u32_e64 s2, 0, v11
	s_delay_alu instid0(VALU_DEP_4) | instskip(NEXT) | instid1(VALU_DEP_1)
	v_dual_cndmask_b32 v7, v17, v15, vcc_lo :: v_dual_cndmask_b32 v11, v16, v14, vcc_lo
	v_dual_cndmask_b32 v7, v13, v7, s2 :: v_dual_bitop2_b32 v10, s20, v10 bitop3:0x14
	s_delay_alu instid0(VALU_DEP_1) | instskip(NEXT) | instid1(VALU_DEP_2)
	v_dual_cndmask_b32 v12, v12, v11, s2 :: v_dual_mov_b32 v11, v10
	v_xor_b32_e32 v13, v7, v10
	s_delay_alu instid0(VALU_DEP_2) | instskip(NEXT) | instid1(VALU_DEP_1)
	v_xor_b32_e32 v12, v12, v10
	v_sub_nc_u64_e32 v[10:11], v[12:13], v[10:11]
.LBB2_5:                                ;   in Loop: Header=BB2_3 Depth=1
	s_and_not1_saveexec_b32 s2, s26
	s_cbranch_execz .LBB2_7
; %bb.6:                                ;   in Loop: Header=BB2_3 Depth=1
	v_cvt_f32_u32_e32 v7, s18
	s_sub_co_i32 s20, 0, s18
	s_delay_alu instid0(VALU_DEP_1) | instskip(SKIP_1) | instid1(TRANS32_DEP_1)
	v_rcp_iflag_f32_e32 v7, v7
	v_nop
	v_mul_f32_e32 v7, 0x4f7ffffe, v7
	s_delay_alu instid0(VALU_DEP_1) | instskip(NEXT) | instid1(VALU_DEP_1)
	v_cvt_u32_f32_e32 v7, v7
	v_mul_lo_u32 v10, s20, v7
	s_delay_alu instid0(VALU_DEP_1) | instskip(NEXT) | instid1(VALU_DEP_1)
	v_mul_hi_u32 v10, v7, v10
	v_add_nc_u32_e32 v7, v7, v10
	s_delay_alu instid0(VALU_DEP_1) | instskip(NEXT) | instid1(VALU_DEP_1)
	v_mul_hi_u32 v7, v8, v7
	v_mul_lo_u32 v10, v7, s18
	s_delay_alu instid0(VALU_DEP_1) | instskip(NEXT) | instid1(VALU_DEP_1)
	v_dual_add_nc_u32 v11, 1, v7 :: v_dual_sub_nc_u32 v10, v8, v10
	v_subrev_nc_u32_e32 v12, s18, v10
	v_cmp_le_u32_e32 vcc_lo, s18, v10
	s_delay_alu instid0(VALU_DEP_2) | instskip(NEXT) | instid1(VALU_DEP_1)
	v_dual_cndmask_b32 v10, v10, v12 :: v_dual_cndmask_b32 v7, v7, v11
	v_cmp_le_u32_e32 vcc_lo, s18, v10
	s_delay_alu instid0(VALU_DEP_2) | instskip(NEXT) | instid1(VALU_DEP_1)
	v_add_nc_u32_e32 v11, 1, v7
	v_dual_cndmask_b32 v10, v7, v11 :: v_dual_mov_b32 v11, v6
.LBB2_7:                                ;   in Loop: Header=BB2_3 Depth=1
	s_or_b32 exec_lo, exec_lo, s2
	s_delay_alu instid0(VALU_DEP_1)
	v_mul_u64_e32 v[12:13], s[18:19], v[10:11]
	s_load_b64 s[18:19], s[16:17], 0xc8
	s_add_co_i32 s25, s25, -1
	s_wait_xcnt 0x0
	s_add_nc_u64 s[16:17], s[16:17], -8
	s_cmp_gt_u32 s25, 2
	s_delay_alu instid0(VALU_DEP_1) | instskip(SKIP_1) | instid1(VALU_DEP_1)
	v_sub_nc_u64_e32 v[8:9], v[8:9], v[12:13]
	s_wait_kmcnt 0x0
	v_mad_nc_u64_u32 v[4:5], s18, v8, v[4:5]
	s_delay_alu instid0(VALU_DEP_1) | instskip(NEXT) | instid1(VALU_DEP_1)
	v_mad_u32 v5, s19, v8, v5
	v_mad_u32 v5, s18, v9, v5
	s_cbranch_scc0 .LBB2_10
; %bb.8:                                ;   in Loop: Header=BB2_3 Depth=1
	v_mov_b64_e32 v[8:9], v[10:11]
	s_branch .LBB2_3
.LBB2_9:
	v_mov_b64_e32 v[10:11], v[0:1]
.LBB2_10:
	v_mul_u64_e32 v[6:7], s[12:13], v[2:3]
	v_mul_u64_e32 v[8:9], s[10:11], v[2:3]
	s_clause 0x2
	s_load_b64 s[10:11], s[0:1], 0x1a8
	s_load_b32 s3, s[8:9], 0xd0
	s_load_b64 s[12:13], s[8:9], 0x0
	s_ashr_i32 s2, s24, 31
	s_wait_xcnt 0x0
	s_load_b64 s[0:1], s[0:1], 0x0
	s_wait_kmcnt 0x0
	v_mad_u32 v5, s3, v10, v4
	v_lshl_add_u64 v[10:11], v[0:1], 2, s[0:1]
	s_ashr_i32 s1, s5, 31
	s_mov_b32 s0, s5
	global_load_b32 v6, v[10:11], off
	v_mul_lo_u32 v0, v7, s4
	v_mov_b32_e32 v4, 0
	v_mul_lo_u32 v8, v9, s7
	s_delay_alu instid0(VALU_DEP_3) | instskip(NEXT) | instid1(VALU_DEP_3)
	v_sub_nc_u32_e32 v0, v2, v0
	v_ashrrev_i64 v[4:5], 29, v[4:5]
	s_delay_alu instid0(VALU_DEP_2) | instskip(SKIP_2) | instid1(VALU_DEP_4)
	v_subrev_nc_u32_e32 v9, s4, v0
	v_cmp_le_u32_e32 vcc_lo, s4, v0
	v_add_nc_u32_e32 v3, 1, v7
	v_add_nc_u64_e32 v[4:5], s[12:13], v[4:5]
	s_delay_alu instid0(VALU_DEP_2) | instskip(SKIP_4) | instid1(VALU_DEP_1)
	v_dual_cndmask_b32 v0, v0, v9 :: v_dual_cndmask_b32 v3, v7, v3
	v_xor_b32_e32 v9, s2, v1
	global_load_b64 v[4:5], v[4:5], off
	v_cmp_le_u32_e32 vcc_lo, s4, v0
	v_add_nc_u32_e32 v7, 1, v3
	v_dual_cndmask_b32 v0, v3, v7 :: v_dual_sub_nc_u32 v7, v2, v8
	s_delay_alu instid0(VALU_DEP_1) | instskip(NEXT) | instid1(VALU_DEP_2)
	v_xor_b32_e32 v0, v0, v9
	v_cmp_le_u32_e32 vcc_lo, s7, v7
	s_wait_loadcnt 0x0
	v_mul_u64_e32 v[2:3], s[0:1], v[4:5]
	v_subrev_nc_u32_e32 v4, s7, v7
	v_sub_nc_u32_e32 v0, v0, v9
	s_mul_i32 s0, s6, s5
	s_delay_alu instid0(VALU_DEP_2) | instskip(NEXT) | instid1(VALU_DEP_2)
	v_cndmask_b32_e32 v5, v7, v4, vcc_lo
	v_mul_lo_u32 v4, s0, v0
	s_delay_alu instid0(VALU_DEP_2) | instskip(SKIP_1) | instid1(VALU_DEP_2)
	v_subrev_nc_u32_e32 v0, s7, v5
	v_cmp_le_u32_e32 vcc_lo, s7, v5
	v_cndmask_b32_e32 v0, v5, v0, vcc_lo
	s_delay_alu instid0(VALU_DEP_1) | instskip(NEXT) | instid1(VALU_DEP_1)
	v_dual_ashrrev_i32 v5, 31, v4 :: v_dual_bitop2_b32 v0, v0, v1 bitop3:0x14
	v_lshl_add_u64 v[4:5], v[4:5], 2, s[10:11]
	s_delay_alu instid0(VALU_DEP_2) | instskip(NEXT) | instid1(VALU_DEP_1)
	v_sub_nc_u32_e32 v0, v0, v1
	v_ashrrev_i32_e32 v1, 31, v0
	s_delay_alu instid0(VALU_DEP_3) | instskip(NEXT) | instid1(VALU_DEP_1)
	v_lshl_add_u64 v[2:3], v[2:3], 2, v[4:5]
	v_lshl_add_u64 v[0:1], v[0:1], 2, v[2:3]
	global_atomic_add_u32 v[0:1], v6, off scope:SCOPE_DEV
.LBB2_11:
	s_endpgm
	.section	.rodata,"a",@progbits
	.p2align	6, 0x0
	.amdhsa_kernel _Z14scatter_kernelIiL13ReductionType0EEvPKT_10TensorInfoIllEPS1_iiii
		.amdhsa_group_segment_fixed_size 0
		.amdhsa_private_segment_fixed_size 0
		.amdhsa_kernarg_size 704
		.amdhsa_user_sgpr_count 2
		.amdhsa_user_sgpr_dispatch_ptr 0
		.amdhsa_user_sgpr_queue_ptr 0
		.amdhsa_user_sgpr_kernarg_segment_ptr 1
		.amdhsa_user_sgpr_dispatch_id 0
		.amdhsa_user_sgpr_kernarg_preload_length 0
		.amdhsa_user_sgpr_kernarg_preload_offset 0
		.amdhsa_user_sgpr_private_segment_size 0
		.amdhsa_wavefront_size32 1
		.amdhsa_uses_dynamic_stack 0
		.amdhsa_enable_private_segment 0
		.amdhsa_system_sgpr_workgroup_id_x 1
		.amdhsa_system_sgpr_workgroup_id_y 0
		.amdhsa_system_sgpr_workgroup_id_z 0
		.amdhsa_system_sgpr_workgroup_info 0
		.amdhsa_system_vgpr_workitem_id 0
		.amdhsa_next_free_vgpr 24
		.amdhsa_next_free_sgpr 38
		.amdhsa_named_barrier_count 0
		.amdhsa_reserve_vcc 1
		.amdhsa_float_round_mode_32 0
		.amdhsa_float_round_mode_16_64 0
		.amdhsa_float_denorm_mode_32 3
		.amdhsa_float_denorm_mode_16_64 3
		.amdhsa_fp16_overflow 0
		.amdhsa_memory_ordered 1
		.amdhsa_forward_progress 1
		.amdhsa_inst_pref_size 12
		.amdhsa_round_robin_scheduling 0
		.amdhsa_exception_fp_ieee_invalid_op 0
		.amdhsa_exception_fp_denorm_src 0
		.amdhsa_exception_fp_ieee_div_zero 0
		.amdhsa_exception_fp_ieee_overflow 0
		.amdhsa_exception_fp_ieee_underflow 0
		.amdhsa_exception_fp_ieee_inexact 0
		.amdhsa_exception_int_div_zero 0
	.end_amdhsa_kernel
	.section	.text._Z14scatter_kernelIiL13ReductionType0EEvPKT_10TensorInfoIllEPS1_iiii,"axG",@progbits,_Z14scatter_kernelIiL13ReductionType0EEvPKT_10TensorInfoIllEPS1_iiii,comdat
.Lfunc_end2:
	.size	_Z14scatter_kernelIiL13ReductionType0EEvPKT_10TensorInfoIllEPS1_iiii, .Lfunc_end2-_Z14scatter_kernelIiL13ReductionType0EEvPKT_10TensorInfoIllEPS1_iiii
                                        ; -- End function
	.set _Z14scatter_kernelIiL13ReductionType0EEvPKT_10TensorInfoIllEPS1_iiii.num_vgpr, 24
	.set _Z14scatter_kernelIiL13ReductionType0EEvPKT_10TensorInfoIllEPS1_iiii.num_agpr, 0
	.set _Z14scatter_kernelIiL13ReductionType0EEvPKT_10TensorInfoIllEPS1_iiii.numbered_sgpr, 38
	.set _Z14scatter_kernelIiL13ReductionType0EEvPKT_10TensorInfoIllEPS1_iiii.num_named_barrier, 0
	.set _Z14scatter_kernelIiL13ReductionType0EEvPKT_10TensorInfoIllEPS1_iiii.private_seg_size, 0
	.set _Z14scatter_kernelIiL13ReductionType0EEvPKT_10TensorInfoIllEPS1_iiii.uses_vcc, 1
	.set _Z14scatter_kernelIiL13ReductionType0EEvPKT_10TensorInfoIllEPS1_iiii.uses_flat_scratch, 0
	.set _Z14scatter_kernelIiL13ReductionType0EEvPKT_10TensorInfoIllEPS1_iiii.has_dyn_sized_stack, 0
	.set _Z14scatter_kernelIiL13ReductionType0EEvPKT_10TensorInfoIllEPS1_iiii.has_recursion, 0
	.set _Z14scatter_kernelIiL13ReductionType0EEvPKT_10TensorInfoIllEPS1_iiii.has_indirect_call, 0
	.section	.AMDGPU.csdata,"",@progbits
; Kernel info:
; codeLenInByte = 1460
; TotalNumSgprs: 40
; NumVgprs: 24
; ScratchSize: 0
; MemoryBound: 0
; FloatMode: 240
; IeeeMode: 1
; LDSByteSize: 0 bytes/workgroup (compile time only)
; SGPRBlocks: 0
; VGPRBlocks: 1
; NumSGPRsForWavesPerEU: 40
; NumVGPRsForWavesPerEU: 24
; NamedBarCnt: 0
; Occupancy: 16
; WaveLimiterHint : 1
; COMPUTE_PGM_RSRC2:SCRATCH_EN: 0
; COMPUTE_PGM_RSRC2:USER_SGPR: 2
; COMPUTE_PGM_RSRC2:TRAP_HANDLER: 0
; COMPUTE_PGM_RSRC2:TGID_X_EN: 1
; COMPUTE_PGM_RSRC2:TGID_Y_EN: 0
; COMPUTE_PGM_RSRC2:TGID_Z_EN: 0
; COMPUTE_PGM_RSRC2:TIDIG_COMP_CNT: 0
	.section	.text._Z14scatter_kernelIiL13ReductionType3EEvPKT_10TensorInfoIllEPS1_iiii,"axG",@progbits,_Z14scatter_kernelIiL13ReductionType3EEvPKT_10TensorInfoIllEPS1_iiii,comdat
	.protected	_Z14scatter_kernelIiL13ReductionType3EEvPKT_10TensorInfoIllEPS1_iiii ; -- Begin function _Z14scatter_kernelIiL13ReductionType3EEvPKT_10TensorInfoIllEPS1_iiii
	.globl	_Z14scatter_kernelIiL13ReductionType3EEvPKT_10TensorInfoIllEPS1_iiii
	.p2align	8
	.type	_Z14scatter_kernelIiL13ReductionType3EEvPKT_10TensorInfoIllEPS1_iiii,@function
_Z14scatter_kernelIiL13ReductionType3EEvPKT_10TensorInfoIllEPS1_iiii: ; @_Z14scatter_kernelIiL13ReductionType3EEvPKT_10TensorInfoIllEPS1_iiii
; %bb.0:
	s_clause 0x1
	s_load_b32 s2, s[0:1], 0x1cc
	s_load_b128 s[4:7], s[0:1], 0x1b0
	s_bfe_u32 s3, ttmp6, 0x4000c
	s_and_b32 s8, ttmp6, 15
	s_add_co_i32 s3, s3, 1
	s_getreg_b32 s9, hwreg(HW_REG_IB_STS2, 6, 4)
	s_mul_i32 s3, ttmp9, s3
	s_mov_b32 s11, 0
	s_add_co_i32 s8, s8, s3
	s_wait_kmcnt 0x0
	s_and_b32 s2, s2, 0xffff
	s_cmp_eq_u32 s9, 0
	s_cselect_b32 s3, ttmp9, s8
	s_delay_alu instid0(SALU_CYCLE_1) | instskip(SKIP_1) | instid1(VALU_DEP_1)
	v_mad_u32 v0, s3, s2, v0
	s_mov_b32 s2, exec_lo
	v_cmpx_gt_i32_e64 s7, v0
	s_cbranch_execz .LBB3_11
; %bb.1:
	s_abs_i32 s7, s5
	s_mul_i32 s24, s5, s4
	s_cvt_f32_u32 s2, s7
	s_abs_i32 s4, s24
	s_load_b32 s16, s[0:1], 0x1a0
	s_cvt_f32_u32 s3, s4
	v_rcp_iflag_f32_e32 v1, s2
	s_sub_co_i32 s10, 0, s7
	s_sub_co_i32 s12, 0, s4
	v_rcp_iflag_f32_e32 v2, s3
	v_mov_b64_e32 v[4:5], 0
	s_add_nc_u64 s[8:9], s[0:1], 8
	s_mov_b32 s13, s11
	v_readfirstlane_b32 s2, v1
	v_dual_mov_b32 v6, 0 :: v_dual_sub_nc_u32 v1, 0, v0
	s_delay_alu instid0(TRANS32_DEP_1) | instskip(SKIP_3) | instid1(SALU_CYCLE_1)
	v_readfirstlane_b32 s3, v2
	s_mul_f32 s2, s2, 0x4f7ffffe
	v_dual_mov_b32 v3, v6 :: v_dual_max_i32 v2, v0, v1
	s_mul_f32 s3, s3, 0x4f7ffffe
	s_cvt_u32_f32 s2, s2
	v_ashrrev_i32_e32 v1, 31, v0
	s_delay_alu instid0(SALU_CYCLE_1) | instskip(NEXT) | instid1(SALU_CYCLE_1)
	s_cvt_u32_f32 s3, s3
	s_mul_i32 s10, s10, s2
	s_delay_alu instid0(SALU_CYCLE_1) | instskip(NEXT) | instid1(SALU_CYCLE_1)
	s_mul_hi_u32 s10, s2, s10
	s_mul_i32 s12, s12, s3
	s_add_co_i32 s10, s2, s10
	s_mul_hi_u32 s2, s3, s12
	s_delay_alu instid0(SALU_CYCLE_1)
	s_add_co_i32 s12, s3, s2
	s_wait_kmcnt 0x0
	s_cmp_lt_i32 s16, 2
	s_cbranch_scc1 .LBB3_9
; %bb.2:
	s_add_co_i32 s2, s16, -1
	s_mov_b32 s3, 0
	v_mov_b64_e32 v[4:5], 0
	v_mov_b64_e32 v[8:9], v[0:1]
	s_lshl_b64 s[18:19], s[2:3], 3
	s_mov_b64 s[14:15], 0xffffffff
	s_add_nc_u64 s[18:19], s[8:9], s[18:19]
	s_add_co_i32 s25, s16, 1
	s_add_nc_u64 s[16:17], s[18:19], 8
.LBB3_3:                                ; =>This Inner Loop Header: Depth=1
	s_load_b64 s[18:19], s[16:17], 0x0
                                        ; implicit-def: $vgpr10_vgpr11
	s_mov_b32 s2, exec_lo
	s_wait_kmcnt 0x0
	s_delay_alu instid0(VALU_DEP_1) | instskip(NEXT) | instid1(VALU_DEP_1)
	v_or_b32_e32 v7, s19, v9
	v_cmpx_ne_u64_e32 0, v[6:7]
	s_xor_b32 s26, exec_lo, s2
	s_cbranch_execz .LBB3_5
; %bb.4:                                ;   in Loop: Header=BB3_3 Depth=1
	s_ashr_i32 s20, s19, 31
	v_dual_mov_b32 v15, v6 :: v_dual_ashrrev_i32 v10, 31, v9
	s_mov_b32 s21, s20
	v_mov_b32_e32 v23, v6
	s_add_nc_u64 s[22:23], s[18:19], s[20:21]
	s_delay_alu instid0(VALU_DEP_2) | instskip(SKIP_1) | instid1(SALU_CYCLE_1)
	v_mov_b32_e32 v11, v10
	s_xor_b64 s[22:23], s[22:23], s[20:21]
	s_cvt_f32_u32 s2, s22
	s_cvt_f32_u32 s21, s23
	s_sub_nc_u64 s[30:31], 0, s[22:23]
	v_add_nc_u64_e32 v[12:13], v[8:9], v[10:11]
	v_mov_b32_e32 v19, v6
	s_fmamk_f32 s2, s21, 0x4f800000, s2
	s_delay_alu instid0(SALU_CYCLE_3) | instskip(NEXT) | instid1(VALU_DEP_2)
	v_s_rcp_f32 s2, s2
	v_xor_b32_e32 v14, v12, v10
	s_delay_alu instid0(VALU_DEP_3) | instskip(NEXT) | instid1(TRANS32_DEP_1)
	v_xor_b32_e32 v18, v13, v10
	s_mul_f32 s2, s2, 0x5f7ffffc
	s_delay_alu instid0(SALU_CYCLE_3) | instskip(NEXT) | instid1(SALU_CYCLE_3)
	s_mul_f32 s21, s2, 0x2f800000
	s_trunc_f32 s21, s21
	s_delay_alu instid0(SALU_CYCLE_3) | instskip(SKIP_1) | instid1(SALU_CYCLE_2)
	s_fmamk_f32 s2, s21, 0xcf800000, s2
	s_cvt_u32_f32 s29, s21
	s_cvt_u32_f32 s28, s2
	s_delay_alu instid0(SALU_CYCLE_3) | instskip(NEXT) | instid1(SALU_CYCLE_1)
	s_mul_u64 s[34:35], s[30:31], s[28:29]
	s_mul_hi_u32 s37, s28, s35
	s_mul_i32 s36, s28, s35
	s_mul_hi_u32 s2, s28, s34
	s_mul_i32 s27, s29, s34
	s_add_nc_u64 s[36:37], s[2:3], s[36:37]
	s_mul_hi_u32 s21, s29, s34
	s_mul_hi_u32 s33, s29, s35
	s_add_co_u32 s2, s36, s27
	s_add_co_ci_u32 s2, s37, s21
	s_mul_i32 s34, s29, s35
	s_add_co_ci_u32 s35, s33, 0
	s_delay_alu instid0(SALU_CYCLE_1) | instskip(NEXT) | instid1(SALU_CYCLE_1)
	s_add_nc_u64 s[34:35], s[2:3], s[34:35]
	s_add_co_u32 s28, s28, s34
	s_cselect_b32 s2, -1, 0
	s_delay_alu instid0(SALU_CYCLE_1) | instskip(SKIP_1) | instid1(SALU_CYCLE_1)
	s_cmp_lg_u32 s2, 0
	s_add_co_ci_u32 s29, s29, s35
	s_mul_u64 s[30:31], s[30:31], s[28:29]
	s_delay_alu instid0(SALU_CYCLE_1)
	s_mul_hi_u32 s35, s28, s31
	s_mul_i32 s34, s28, s31
	s_mul_hi_u32 s2, s28, s30
	s_mul_i32 s27, s29, s30
	s_add_nc_u64 s[34:35], s[2:3], s[34:35]
	s_mul_hi_u32 s21, s29, s30
	s_mul_hi_u32 s33, s29, s31
	s_add_co_u32 s2, s34, s27
	s_add_co_ci_u32 s2, s35, s21
	s_mul_i32 s30, s29, s31
	s_add_co_ci_u32 s31, s33, 0
	s_delay_alu instid0(SALU_CYCLE_1) | instskip(NEXT) | instid1(SALU_CYCLE_1)
	s_add_nc_u64 s[30:31], s[2:3], s[30:31]
	s_add_co_u32 s28, s28, s30
	s_cselect_b32 s2, -1, 0
	v_mul_hi_u32 v22, v14, s28
	s_cmp_lg_u32 s2, 0
	s_add_co_ci_u32 s2, s29, s31
	s_and_b64 s[30:31], s[28:29], s[14:15]
	v_mul_u64_e32 v[16:17], s[2:3], v[14:15]
	v_mul_u64_e32 v[12:13], s[30:31], v[18:19]
	;; [unrolled: 1-line block ×3, first 2 shown]
	s_delay_alu instid0(VALU_DEP_3) | instskip(NEXT) | instid1(VALU_DEP_1)
	v_add_nc_u64_e32 v[16:17], v[22:23], v[16:17]
	v_add_co_u32 v7, vcc_lo, v16, v12
	s_delay_alu instid0(VALU_DEP_2) | instskip(NEXT) | instid1(VALU_DEP_4)
	v_add_co_ci_u32_e32 v22, vcc_lo, v17, v13, vcc_lo
	v_add_co_ci_u32_e32 v21, vcc_lo, 0, v21, vcc_lo
	s_delay_alu instid0(VALU_DEP_1) | instskip(NEXT) | instid1(VALU_DEP_1)
	v_add_nc_u64_e32 v[12:13], v[22:23], v[20:21]
	v_mul_u64_e32 v[16:17], s[22:23], v[12:13]
	s_delay_alu instid0(VALU_DEP_1) | instskip(NEXT) | instid1(VALU_DEP_2)
	v_sub_nc_u32_e32 v7, v18, v17
	v_sub_co_u32 v11, vcc_lo, v14, v16
	s_delay_alu instid0(VALU_DEP_1) | instskip(NEXT) | instid1(VALU_DEP_3)
	v_sub_co_ci_u32_e64 v18, null, v18, v17, vcc_lo
	v_subrev_co_ci_u32_e64 v7, null, s23, v7, vcc_lo
	s_delay_alu instid0(VALU_DEP_3) | instskip(SKIP_1) | instid1(VALU_DEP_3)
	v_sub_co_u32 v14, s2, v11, s22
	v_add_nc_u64_e32 v[16:17], 1, v[12:13]
	v_subrev_co_ci_u32_e64 v7, null, 0, v7, s2
	s_delay_alu instid0(VALU_DEP_3) | instskip(SKIP_1) | instid1(VALU_DEP_3)
	v_cmp_le_u32_e32 vcc_lo, s22, v14
	v_cndmask_b32_e64 v14, 0, -1, vcc_lo
	v_cmp_le_u32_e32 vcc_lo, s23, v7
	v_cndmask_b32_e64 v15, 0, -1, vcc_lo
	;; [unrolled: 2-line block ×4, first 2 shown]
	v_cmp_eq_u32_e32 vcc_lo, s23, v7
	v_cndmask_b32_e32 v7, v15, v14, vcc_lo
	v_cmp_eq_u32_e32 vcc_lo, s23, v18
	v_add_nc_u64_e32 v[14:15], 2, v[12:13]
	v_cndmask_b32_e32 v11, v19, v11, vcc_lo
	s_delay_alu instid0(VALU_DEP_4) | instskip(NEXT) | instid1(VALU_DEP_2)
	v_cmp_ne_u32_e32 vcc_lo, 0, v7
	v_cmp_ne_u32_e64 s2, 0, v11
	s_delay_alu instid0(VALU_DEP_4) | instskip(NEXT) | instid1(VALU_DEP_1)
	v_dual_cndmask_b32 v7, v17, v15, vcc_lo :: v_dual_cndmask_b32 v11, v16, v14, vcc_lo
	v_dual_cndmask_b32 v7, v13, v7, s2 :: v_dual_bitop2_b32 v10, s20, v10 bitop3:0x14
	s_delay_alu instid0(VALU_DEP_1) | instskip(NEXT) | instid1(VALU_DEP_2)
	v_dual_cndmask_b32 v12, v12, v11, s2 :: v_dual_mov_b32 v11, v10
	v_xor_b32_e32 v13, v7, v10
	s_delay_alu instid0(VALU_DEP_2) | instskip(NEXT) | instid1(VALU_DEP_1)
	v_xor_b32_e32 v12, v12, v10
	v_sub_nc_u64_e32 v[10:11], v[12:13], v[10:11]
.LBB3_5:                                ;   in Loop: Header=BB3_3 Depth=1
	s_and_not1_saveexec_b32 s2, s26
	s_cbranch_execz .LBB3_7
; %bb.6:                                ;   in Loop: Header=BB3_3 Depth=1
	v_cvt_f32_u32_e32 v7, s18
	s_sub_co_i32 s20, 0, s18
	s_delay_alu instid0(VALU_DEP_1) | instskip(SKIP_1) | instid1(TRANS32_DEP_1)
	v_rcp_iflag_f32_e32 v7, v7
	v_nop
	v_mul_f32_e32 v7, 0x4f7ffffe, v7
	s_delay_alu instid0(VALU_DEP_1) | instskip(NEXT) | instid1(VALU_DEP_1)
	v_cvt_u32_f32_e32 v7, v7
	v_mul_lo_u32 v10, s20, v7
	s_delay_alu instid0(VALU_DEP_1) | instskip(NEXT) | instid1(VALU_DEP_1)
	v_mul_hi_u32 v10, v7, v10
	v_add_nc_u32_e32 v7, v7, v10
	s_delay_alu instid0(VALU_DEP_1) | instskip(NEXT) | instid1(VALU_DEP_1)
	v_mul_hi_u32 v7, v8, v7
	v_mul_lo_u32 v10, v7, s18
	s_delay_alu instid0(VALU_DEP_1) | instskip(NEXT) | instid1(VALU_DEP_1)
	v_dual_add_nc_u32 v11, 1, v7 :: v_dual_sub_nc_u32 v10, v8, v10
	v_subrev_nc_u32_e32 v12, s18, v10
	v_cmp_le_u32_e32 vcc_lo, s18, v10
	s_delay_alu instid0(VALU_DEP_2) | instskip(NEXT) | instid1(VALU_DEP_1)
	v_dual_cndmask_b32 v10, v10, v12 :: v_dual_cndmask_b32 v7, v7, v11
	v_cmp_le_u32_e32 vcc_lo, s18, v10
	s_delay_alu instid0(VALU_DEP_2) | instskip(NEXT) | instid1(VALU_DEP_1)
	v_add_nc_u32_e32 v11, 1, v7
	v_dual_cndmask_b32 v10, v7, v11 :: v_dual_mov_b32 v11, v6
.LBB3_7:                                ;   in Loop: Header=BB3_3 Depth=1
	s_or_b32 exec_lo, exec_lo, s2
	s_delay_alu instid0(VALU_DEP_1)
	v_mul_u64_e32 v[12:13], s[18:19], v[10:11]
	s_load_b64 s[18:19], s[16:17], 0xc8
	s_add_co_i32 s25, s25, -1
	s_wait_xcnt 0x0
	s_add_nc_u64 s[16:17], s[16:17], -8
	s_cmp_gt_u32 s25, 2
	s_delay_alu instid0(VALU_DEP_1) | instskip(SKIP_1) | instid1(VALU_DEP_1)
	v_sub_nc_u64_e32 v[8:9], v[8:9], v[12:13]
	s_wait_kmcnt 0x0
	v_mad_nc_u64_u32 v[4:5], s18, v8, v[4:5]
	s_delay_alu instid0(VALU_DEP_1) | instskip(NEXT) | instid1(VALU_DEP_1)
	v_mad_u32 v5, s19, v8, v5
	v_mad_u32 v5, s18, v9, v5
	s_cbranch_scc0 .LBB3_10
; %bb.8:                                ;   in Loop: Header=BB3_3 Depth=1
	v_mov_b64_e32 v[8:9], v[10:11]
	s_branch .LBB3_3
.LBB3_9:
	v_mov_b64_e32 v[10:11], v[0:1]
.LBB3_10:
	v_mul_u64_e32 v[6:7], s[12:13], v[2:3]
	v_mul_u64_e32 v[8:9], s[10:11], v[2:3]
	s_clause 0x2
	s_load_b64 s[10:11], s[0:1], 0x1a8
	s_load_b32 s3, s[8:9], 0xd0
	s_load_b64 s[12:13], s[8:9], 0x0
	s_ashr_i32 s2, s24, 31
	s_wait_xcnt 0x0
	s_load_b64 s[0:1], s[0:1], 0x0
	s_wait_kmcnt 0x0
	v_mad_u32 v5, s3, v10, v4
	v_lshl_add_u64 v[10:11], v[0:1], 2, s[0:1]
	s_ashr_i32 s1, s5, 31
	s_mov_b32 s0, s5
	global_load_b32 v6, v[10:11], off
	v_mul_lo_u32 v0, v7, s4
	v_mov_b32_e32 v4, 0
	v_mul_lo_u32 v8, v9, s7
	s_delay_alu instid0(VALU_DEP_3) | instskip(NEXT) | instid1(VALU_DEP_3)
	v_sub_nc_u32_e32 v0, v2, v0
	v_ashrrev_i64 v[4:5], 29, v[4:5]
	s_delay_alu instid0(VALU_DEP_2) | instskip(SKIP_2) | instid1(VALU_DEP_4)
	v_subrev_nc_u32_e32 v9, s4, v0
	v_cmp_le_u32_e32 vcc_lo, s4, v0
	v_add_nc_u32_e32 v3, 1, v7
	v_add_nc_u64_e32 v[4:5], s[12:13], v[4:5]
	s_delay_alu instid0(VALU_DEP_2) | instskip(SKIP_4) | instid1(VALU_DEP_1)
	v_dual_cndmask_b32 v0, v0, v9 :: v_dual_cndmask_b32 v3, v7, v3
	v_xor_b32_e32 v9, s2, v1
	global_load_b64 v[4:5], v[4:5], off
	v_cmp_le_u32_e32 vcc_lo, s4, v0
	v_add_nc_u32_e32 v7, 1, v3
	v_dual_cndmask_b32 v0, v3, v7 :: v_dual_sub_nc_u32 v7, v2, v8
	s_delay_alu instid0(VALU_DEP_1) | instskip(NEXT) | instid1(VALU_DEP_2)
	v_xor_b32_e32 v0, v0, v9
	v_cmp_le_u32_e32 vcc_lo, s7, v7
	s_wait_loadcnt 0x0
	v_mul_u64_e32 v[2:3], s[0:1], v[4:5]
	v_subrev_nc_u32_e32 v4, s7, v7
	v_sub_nc_u32_e32 v0, v0, v9
	s_mul_i32 s0, s6, s5
	s_delay_alu instid0(VALU_DEP_2) | instskip(NEXT) | instid1(VALU_DEP_2)
	v_cndmask_b32_e32 v5, v7, v4, vcc_lo
	v_mul_lo_u32 v4, s0, v0
	s_delay_alu instid0(VALU_DEP_2) | instskip(SKIP_1) | instid1(VALU_DEP_2)
	v_subrev_nc_u32_e32 v0, s7, v5
	v_cmp_le_u32_e32 vcc_lo, s7, v5
	v_cndmask_b32_e32 v0, v5, v0, vcc_lo
	s_delay_alu instid0(VALU_DEP_1) | instskip(NEXT) | instid1(VALU_DEP_1)
	v_dual_ashrrev_i32 v5, 31, v4 :: v_dual_bitop2_b32 v0, v0, v1 bitop3:0x14
	v_lshl_add_u64 v[4:5], v[4:5], 2, s[10:11]
	s_delay_alu instid0(VALU_DEP_2) | instskip(NEXT) | instid1(VALU_DEP_1)
	v_sub_nc_u32_e32 v0, v0, v1
	v_ashrrev_i32_e32 v1, 31, v0
	s_delay_alu instid0(VALU_DEP_3) | instskip(NEXT) | instid1(VALU_DEP_1)
	v_lshl_add_u64 v[2:3], v[2:3], 2, v[4:5]
	v_lshl_add_u64 v[0:1], v[0:1], 2, v[2:3]
	global_atomic_min_i32 v[0:1], v6, off scope:SCOPE_DEV
.LBB3_11:
	s_endpgm
	.section	.rodata,"a",@progbits
	.p2align	6, 0x0
	.amdhsa_kernel _Z14scatter_kernelIiL13ReductionType3EEvPKT_10TensorInfoIllEPS1_iiii
		.amdhsa_group_segment_fixed_size 0
		.amdhsa_private_segment_fixed_size 0
		.amdhsa_kernarg_size 704
		.amdhsa_user_sgpr_count 2
		.amdhsa_user_sgpr_dispatch_ptr 0
		.amdhsa_user_sgpr_queue_ptr 0
		.amdhsa_user_sgpr_kernarg_segment_ptr 1
		.amdhsa_user_sgpr_dispatch_id 0
		.amdhsa_user_sgpr_kernarg_preload_length 0
		.amdhsa_user_sgpr_kernarg_preload_offset 0
		.amdhsa_user_sgpr_private_segment_size 0
		.amdhsa_wavefront_size32 1
		.amdhsa_uses_dynamic_stack 0
		.amdhsa_enable_private_segment 0
		.amdhsa_system_sgpr_workgroup_id_x 1
		.amdhsa_system_sgpr_workgroup_id_y 0
		.amdhsa_system_sgpr_workgroup_id_z 0
		.amdhsa_system_sgpr_workgroup_info 0
		.amdhsa_system_vgpr_workitem_id 0
		.amdhsa_next_free_vgpr 24
		.amdhsa_next_free_sgpr 38
		.amdhsa_named_barrier_count 0
		.amdhsa_reserve_vcc 1
		.amdhsa_float_round_mode_32 0
		.amdhsa_float_round_mode_16_64 0
		.amdhsa_float_denorm_mode_32 3
		.amdhsa_float_denorm_mode_16_64 3
		.amdhsa_fp16_overflow 0
		.amdhsa_memory_ordered 1
		.amdhsa_forward_progress 1
		.amdhsa_inst_pref_size 12
		.amdhsa_round_robin_scheduling 0
		.amdhsa_exception_fp_ieee_invalid_op 0
		.amdhsa_exception_fp_denorm_src 0
		.amdhsa_exception_fp_ieee_div_zero 0
		.amdhsa_exception_fp_ieee_overflow 0
		.amdhsa_exception_fp_ieee_underflow 0
		.amdhsa_exception_fp_ieee_inexact 0
		.amdhsa_exception_int_div_zero 0
	.end_amdhsa_kernel
	.section	.text._Z14scatter_kernelIiL13ReductionType3EEvPKT_10TensorInfoIllEPS1_iiii,"axG",@progbits,_Z14scatter_kernelIiL13ReductionType3EEvPKT_10TensorInfoIllEPS1_iiii,comdat
.Lfunc_end3:
	.size	_Z14scatter_kernelIiL13ReductionType3EEvPKT_10TensorInfoIllEPS1_iiii, .Lfunc_end3-_Z14scatter_kernelIiL13ReductionType3EEvPKT_10TensorInfoIllEPS1_iiii
                                        ; -- End function
	.set _Z14scatter_kernelIiL13ReductionType3EEvPKT_10TensorInfoIllEPS1_iiii.num_vgpr, 24
	.set _Z14scatter_kernelIiL13ReductionType3EEvPKT_10TensorInfoIllEPS1_iiii.num_agpr, 0
	.set _Z14scatter_kernelIiL13ReductionType3EEvPKT_10TensorInfoIllEPS1_iiii.numbered_sgpr, 38
	.set _Z14scatter_kernelIiL13ReductionType3EEvPKT_10TensorInfoIllEPS1_iiii.num_named_barrier, 0
	.set _Z14scatter_kernelIiL13ReductionType3EEvPKT_10TensorInfoIllEPS1_iiii.private_seg_size, 0
	.set _Z14scatter_kernelIiL13ReductionType3EEvPKT_10TensorInfoIllEPS1_iiii.uses_vcc, 1
	.set _Z14scatter_kernelIiL13ReductionType3EEvPKT_10TensorInfoIllEPS1_iiii.uses_flat_scratch, 0
	.set _Z14scatter_kernelIiL13ReductionType3EEvPKT_10TensorInfoIllEPS1_iiii.has_dyn_sized_stack, 0
	.set _Z14scatter_kernelIiL13ReductionType3EEvPKT_10TensorInfoIllEPS1_iiii.has_recursion, 0
	.set _Z14scatter_kernelIiL13ReductionType3EEvPKT_10TensorInfoIllEPS1_iiii.has_indirect_call, 0
	.section	.AMDGPU.csdata,"",@progbits
; Kernel info:
; codeLenInByte = 1460
; TotalNumSgprs: 40
; NumVgprs: 24
; ScratchSize: 0
; MemoryBound: 0
; FloatMode: 240
; IeeeMode: 1
; LDSByteSize: 0 bytes/workgroup (compile time only)
; SGPRBlocks: 0
; VGPRBlocks: 1
; NumSGPRsForWavesPerEU: 40
; NumVGPRsForWavesPerEU: 24
; NamedBarCnt: 0
; Occupancy: 16
; WaveLimiterHint : 1
; COMPUTE_PGM_RSRC2:SCRATCH_EN: 0
; COMPUTE_PGM_RSRC2:USER_SGPR: 2
; COMPUTE_PGM_RSRC2:TRAP_HANDLER: 0
; COMPUTE_PGM_RSRC2:TGID_X_EN: 1
; COMPUTE_PGM_RSRC2:TGID_Y_EN: 0
; COMPUTE_PGM_RSRC2:TGID_Z_EN: 0
; COMPUTE_PGM_RSRC2:TIDIG_COMP_CNT: 0
	.section	.text._Z14scatter_kernelIiL13ReductionType4EEvPKT_10TensorInfoIllEPS1_iiii,"axG",@progbits,_Z14scatter_kernelIiL13ReductionType4EEvPKT_10TensorInfoIllEPS1_iiii,comdat
	.protected	_Z14scatter_kernelIiL13ReductionType4EEvPKT_10TensorInfoIllEPS1_iiii ; -- Begin function _Z14scatter_kernelIiL13ReductionType4EEvPKT_10TensorInfoIllEPS1_iiii
	.globl	_Z14scatter_kernelIiL13ReductionType4EEvPKT_10TensorInfoIllEPS1_iiii
	.p2align	8
	.type	_Z14scatter_kernelIiL13ReductionType4EEvPKT_10TensorInfoIllEPS1_iiii,@function
_Z14scatter_kernelIiL13ReductionType4EEvPKT_10TensorInfoIllEPS1_iiii: ; @_Z14scatter_kernelIiL13ReductionType4EEvPKT_10TensorInfoIllEPS1_iiii
; %bb.0:
	s_clause 0x1
	s_load_b32 s2, s[0:1], 0x1cc
	s_load_b128 s[4:7], s[0:1], 0x1b0
	s_bfe_u32 s3, ttmp6, 0x4000c
	s_and_b32 s8, ttmp6, 15
	s_add_co_i32 s3, s3, 1
	s_getreg_b32 s9, hwreg(HW_REG_IB_STS2, 6, 4)
	s_mul_i32 s3, ttmp9, s3
	s_mov_b32 s11, 0
	s_add_co_i32 s8, s8, s3
	s_wait_kmcnt 0x0
	s_and_b32 s2, s2, 0xffff
	s_cmp_eq_u32 s9, 0
	s_cselect_b32 s3, ttmp9, s8
	s_delay_alu instid0(SALU_CYCLE_1) | instskip(SKIP_1) | instid1(VALU_DEP_1)
	v_mad_u32 v0, s3, s2, v0
	s_mov_b32 s2, exec_lo
	v_cmpx_gt_i32_e64 s7, v0
	s_cbranch_execz .LBB4_11
; %bb.1:
	s_abs_i32 s7, s5
	s_mul_i32 s24, s5, s4
	s_cvt_f32_u32 s2, s7
	s_abs_i32 s4, s24
	s_load_b32 s16, s[0:1], 0x1a0
	s_cvt_f32_u32 s3, s4
	v_rcp_iflag_f32_e32 v1, s2
	s_sub_co_i32 s10, 0, s7
	s_sub_co_i32 s12, 0, s4
	v_rcp_iflag_f32_e32 v2, s3
	v_mov_b64_e32 v[4:5], 0
	s_add_nc_u64 s[8:9], s[0:1], 8
	s_mov_b32 s13, s11
	v_readfirstlane_b32 s2, v1
	v_dual_mov_b32 v6, 0 :: v_dual_sub_nc_u32 v1, 0, v0
	s_delay_alu instid0(TRANS32_DEP_1) | instskip(SKIP_3) | instid1(SALU_CYCLE_1)
	v_readfirstlane_b32 s3, v2
	s_mul_f32 s2, s2, 0x4f7ffffe
	v_dual_mov_b32 v3, v6 :: v_dual_max_i32 v2, v0, v1
	s_mul_f32 s3, s3, 0x4f7ffffe
	s_cvt_u32_f32 s2, s2
	v_ashrrev_i32_e32 v1, 31, v0
	s_delay_alu instid0(SALU_CYCLE_1) | instskip(NEXT) | instid1(SALU_CYCLE_1)
	s_cvt_u32_f32 s3, s3
	s_mul_i32 s10, s10, s2
	s_delay_alu instid0(SALU_CYCLE_1) | instskip(NEXT) | instid1(SALU_CYCLE_1)
	s_mul_hi_u32 s10, s2, s10
	s_mul_i32 s12, s12, s3
	s_add_co_i32 s10, s2, s10
	s_mul_hi_u32 s2, s3, s12
	s_delay_alu instid0(SALU_CYCLE_1)
	s_add_co_i32 s12, s3, s2
	s_wait_kmcnt 0x0
	s_cmp_lt_i32 s16, 2
	s_cbranch_scc1 .LBB4_9
; %bb.2:
	s_add_co_i32 s2, s16, -1
	s_mov_b32 s3, 0
	v_mov_b64_e32 v[4:5], 0
	v_mov_b64_e32 v[8:9], v[0:1]
	s_lshl_b64 s[18:19], s[2:3], 3
	s_mov_b64 s[14:15], 0xffffffff
	s_add_nc_u64 s[18:19], s[8:9], s[18:19]
	s_add_co_i32 s25, s16, 1
	s_add_nc_u64 s[16:17], s[18:19], 8
.LBB4_3:                                ; =>This Inner Loop Header: Depth=1
	s_load_b64 s[18:19], s[16:17], 0x0
                                        ; implicit-def: $vgpr10_vgpr11
	s_mov_b32 s2, exec_lo
	s_wait_kmcnt 0x0
	s_delay_alu instid0(VALU_DEP_1) | instskip(NEXT) | instid1(VALU_DEP_1)
	v_or_b32_e32 v7, s19, v9
	v_cmpx_ne_u64_e32 0, v[6:7]
	s_xor_b32 s26, exec_lo, s2
	s_cbranch_execz .LBB4_5
; %bb.4:                                ;   in Loop: Header=BB4_3 Depth=1
	s_ashr_i32 s20, s19, 31
	v_dual_mov_b32 v15, v6 :: v_dual_ashrrev_i32 v10, 31, v9
	s_mov_b32 s21, s20
	v_mov_b32_e32 v23, v6
	s_add_nc_u64 s[22:23], s[18:19], s[20:21]
	s_delay_alu instid0(VALU_DEP_2) | instskip(SKIP_1) | instid1(SALU_CYCLE_1)
	v_mov_b32_e32 v11, v10
	s_xor_b64 s[22:23], s[22:23], s[20:21]
	s_cvt_f32_u32 s2, s22
	s_cvt_f32_u32 s21, s23
	s_sub_nc_u64 s[30:31], 0, s[22:23]
	v_add_nc_u64_e32 v[12:13], v[8:9], v[10:11]
	v_mov_b32_e32 v19, v6
	s_fmamk_f32 s2, s21, 0x4f800000, s2
	s_delay_alu instid0(SALU_CYCLE_3) | instskip(NEXT) | instid1(VALU_DEP_2)
	v_s_rcp_f32 s2, s2
	v_xor_b32_e32 v14, v12, v10
	s_delay_alu instid0(VALU_DEP_3) | instskip(NEXT) | instid1(TRANS32_DEP_1)
	v_xor_b32_e32 v18, v13, v10
	s_mul_f32 s2, s2, 0x5f7ffffc
	s_delay_alu instid0(SALU_CYCLE_3) | instskip(NEXT) | instid1(SALU_CYCLE_3)
	s_mul_f32 s21, s2, 0x2f800000
	s_trunc_f32 s21, s21
	s_delay_alu instid0(SALU_CYCLE_3) | instskip(SKIP_1) | instid1(SALU_CYCLE_2)
	s_fmamk_f32 s2, s21, 0xcf800000, s2
	s_cvt_u32_f32 s29, s21
	s_cvt_u32_f32 s28, s2
	s_delay_alu instid0(SALU_CYCLE_3) | instskip(NEXT) | instid1(SALU_CYCLE_1)
	s_mul_u64 s[34:35], s[30:31], s[28:29]
	s_mul_hi_u32 s37, s28, s35
	s_mul_i32 s36, s28, s35
	s_mul_hi_u32 s2, s28, s34
	s_mul_i32 s27, s29, s34
	s_add_nc_u64 s[36:37], s[2:3], s[36:37]
	s_mul_hi_u32 s21, s29, s34
	s_mul_hi_u32 s33, s29, s35
	s_add_co_u32 s2, s36, s27
	s_add_co_ci_u32 s2, s37, s21
	s_mul_i32 s34, s29, s35
	s_add_co_ci_u32 s35, s33, 0
	s_delay_alu instid0(SALU_CYCLE_1) | instskip(NEXT) | instid1(SALU_CYCLE_1)
	s_add_nc_u64 s[34:35], s[2:3], s[34:35]
	s_add_co_u32 s28, s28, s34
	s_cselect_b32 s2, -1, 0
	s_delay_alu instid0(SALU_CYCLE_1) | instskip(SKIP_1) | instid1(SALU_CYCLE_1)
	s_cmp_lg_u32 s2, 0
	s_add_co_ci_u32 s29, s29, s35
	s_mul_u64 s[30:31], s[30:31], s[28:29]
	s_delay_alu instid0(SALU_CYCLE_1)
	s_mul_hi_u32 s35, s28, s31
	s_mul_i32 s34, s28, s31
	s_mul_hi_u32 s2, s28, s30
	s_mul_i32 s27, s29, s30
	s_add_nc_u64 s[34:35], s[2:3], s[34:35]
	s_mul_hi_u32 s21, s29, s30
	s_mul_hi_u32 s33, s29, s31
	s_add_co_u32 s2, s34, s27
	s_add_co_ci_u32 s2, s35, s21
	s_mul_i32 s30, s29, s31
	s_add_co_ci_u32 s31, s33, 0
	s_delay_alu instid0(SALU_CYCLE_1) | instskip(NEXT) | instid1(SALU_CYCLE_1)
	s_add_nc_u64 s[30:31], s[2:3], s[30:31]
	s_add_co_u32 s28, s28, s30
	s_cselect_b32 s2, -1, 0
	v_mul_hi_u32 v22, v14, s28
	s_cmp_lg_u32 s2, 0
	s_add_co_ci_u32 s2, s29, s31
	s_and_b64 s[30:31], s[28:29], s[14:15]
	v_mul_u64_e32 v[16:17], s[2:3], v[14:15]
	v_mul_u64_e32 v[12:13], s[30:31], v[18:19]
	;; [unrolled: 1-line block ×3, first 2 shown]
	s_delay_alu instid0(VALU_DEP_3) | instskip(NEXT) | instid1(VALU_DEP_1)
	v_add_nc_u64_e32 v[16:17], v[22:23], v[16:17]
	v_add_co_u32 v7, vcc_lo, v16, v12
	s_delay_alu instid0(VALU_DEP_2) | instskip(NEXT) | instid1(VALU_DEP_4)
	v_add_co_ci_u32_e32 v22, vcc_lo, v17, v13, vcc_lo
	v_add_co_ci_u32_e32 v21, vcc_lo, 0, v21, vcc_lo
	s_delay_alu instid0(VALU_DEP_1) | instskip(NEXT) | instid1(VALU_DEP_1)
	v_add_nc_u64_e32 v[12:13], v[22:23], v[20:21]
	v_mul_u64_e32 v[16:17], s[22:23], v[12:13]
	s_delay_alu instid0(VALU_DEP_1) | instskip(NEXT) | instid1(VALU_DEP_2)
	v_sub_nc_u32_e32 v7, v18, v17
	v_sub_co_u32 v11, vcc_lo, v14, v16
	s_delay_alu instid0(VALU_DEP_1) | instskip(NEXT) | instid1(VALU_DEP_3)
	v_sub_co_ci_u32_e64 v18, null, v18, v17, vcc_lo
	v_subrev_co_ci_u32_e64 v7, null, s23, v7, vcc_lo
	s_delay_alu instid0(VALU_DEP_3) | instskip(SKIP_1) | instid1(VALU_DEP_3)
	v_sub_co_u32 v14, s2, v11, s22
	v_add_nc_u64_e32 v[16:17], 1, v[12:13]
	v_subrev_co_ci_u32_e64 v7, null, 0, v7, s2
	s_delay_alu instid0(VALU_DEP_3) | instskip(SKIP_1) | instid1(VALU_DEP_3)
	v_cmp_le_u32_e32 vcc_lo, s22, v14
	v_cndmask_b32_e64 v14, 0, -1, vcc_lo
	v_cmp_le_u32_e32 vcc_lo, s23, v7
	v_cndmask_b32_e64 v15, 0, -1, vcc_lo
	;; [unrolled: 2-line block ×4, first 2 shown]
	v_cmp_eq_u32_e32 vcc_lo, s23, v7
	v_cndmask_b32_e32 v7, v15, v14, vcc_lo
	v_cmp_eq_u32_e32 vcc_lo, s23, v18
	v_add_nc_u64_e32 v[14:15], 2, v[12:13]
	v_cndmask_b32_e32 v11, v19, v11, vcc_lo
	s_delay_alu instid0(VALU_DEP_4) | instskip(NEXT) | instid1(VALU_DEP_2)
	v_cmp_ne_u32_e32 vcc_lo, 0, v7
	v_cmp_ne_u32_e64 s2, 0, v11
	s_delay_alu instid0(VALU_DEP_4) | instskip(NEXT) | instid1(VALU_DEP_1)
	v_dual_cndmask_b32 v7, v17, v15, vcc_lo :: v_dual_cndmask_b32 v11, v16, v14, vcc_lo
	v_dual_cndmask_b32 v7, v13, v7, s2 :: v_dual_bitop2_b32 v10, s20, v10 bitop3:0x14
	s_delay_alu instid0(VALU_DEP_1) | instskip(NEXT) | instid1(VALU_DEP_2)
	v_dual_cndmask_b32 v12, v12, v11, s2 :: v_dual_mov_b32 v11, v10
	v_xor_b32_e32 v13, v7, v10
	s_delay_alu instid0(VALU_DEP_2) | instskip(NEXT) | instid1(VALU_DEP_1)
	v_xor_b32_e32 v12, v12, v10
	v_sub_nc_u64_e32 v[10:11], v[12:13], v[10:11]
.LBB4_5:                                ;   in Loop: Header=BB4_3 Depth=1
	s_and_not1_saveexec_b32 s2, s26
	s_cbranch_execz .LBB4_7
; %bb.6:                                ;   in Loop: Header=BB4_3 Depth=1
	v_cvt_f32_u32_e32 v7, s18
	s_sub_co_i32 s20, 0, s18
	s_delay_alu instid0(VALU_DEP_1) | instskip(SKIP_1) | instid1(TRANS32_DEP_1)
	v_rcp_iflag_f32_e32 v7, v7
	v_nop
	v_mul_f32_e32 v7, 0x4f7ffffe, v7
	s_delay_alu instid0(VALU_DEP_1) | instskip(NEXT) | instid1(VALU_DEP_1)
	v_cvt_u32_f32_e32 v7, v7
	v_mul_lo_u32 v10, s20, v7
	s_delay_alu instid0(VALU_DEP_1) | instskip(NEXT) | instid1(VALU_DEP_1)
	v_mul_hi_u32 v10, v7, v10
	v_add_nc_u32_e32 v7, v7, v10
	s_delay_alu instid0(VALU_DEP_1) | instskip(NEXT) | instid1(VALU_DEP_1)
	v_mul_hi_u32 v7, v8, v7
	v_mul_lo_u32 v10, v7, s18
	s_delay_alu instid0(VALU_DEP_1) | instskip(NEXT) | instid1(VALU_DEP_1)
	v_dual_add_nc_u32 v11, 1, v7 :: v_dual_sub_nc_u32 v10, v8, v10
	v_subrev_nc_u32_e32 v12, s18, v10
	v_cmp_le_u32_e32 vcc_lo, s18, v10
	s_delay_alu instid0(VALU_DEP_2) | instskip(NEXT) | instid1(VALU_DEP_1)
	v_dual_cndmask_b32 v10, v10, v12 :: v_dual_cndmask_b32 v7, v7, v11
	v_cmp_le_u32_e32 vcc_lo, s18, v10
	s_delay_alu instid0(VALU_DEP_2) | instskip(NEXT) | instid1(VALU_DEP_1)
	v_add_nc_u32_e32 v11, 1, v7
	v_dual_cndmask_b32 v10, v7, v11 :: v_dual_mov_b32 v11, v6
.LBB4_7:                                ;   in Loop: Header=BB4_3 Depth=1
	s_or_b32 exec_lo, exec_lo, s2
	s_delay_alu instid0(VALU_DEP_1)
	v_mul_u64_e32 v[12:13], s[18:19], v[10:11]
	s_load_b64 s[18:19], s[16:17], 0xc8
	s_add_co_i32 s25, s25, -1
	s_wait_xcnt 0x0
	s_add_nc_u64 s[16:17], s[16:17], -8
	s_cmp_gt_u32 s25, 2
	s_delay_alu instid0(VALU_DEP_1) | instskip(SKIP_1) | instid1(VALU_DEP_1)
	v_sub_nc_u64_e32 v[8:9], v[8:9], v[12:13]
	s_wait_kmcnt 0x0
	v_mad_nc_u64_u32 v[4:5], s18, v8, v[4:5]
	s_delay_alu instid0(VALU_DEP_1) | instskip(NEXT) | instid1(VALU_DEP_1)
	v_mad_u32 v5, s19, v8, v5
	v_mad_u32 v5, s18, v9, v5
	s_cbranch_scc0 .LBB4_10
; %bb.8:                                ;   in Loop: Header=BB4_3 Depth=1
	v_mov_b64_e32 v[8:9], v[10:11]
	s_branch .LBB4_3
.LBB4_9:
	v_mov_b64_e32 v[10:11], v[0:1]
.LBB4_10:
	v_mul_u64_e32 v[6:7], s[12:13], v[2:3]
	v_mul_u64_e32 v[8:9], s[10:11], v[2:3]
	s_clause 0x2
	s_load_b64 s[10:11], s[0:1], 0x1a8
	s_load_b32 s3, s[8:9], 0xd0
	s_load_b64 s[12:13], s[8:9], 0x0
	s_ashr_i32 s2, s24, 31
	s_wait_xcnt 0x0
	s_load_b64 s[0:1], s[0:1], 0x0
	s_wait_kmcnt 0x0
	v_mad_u32 v5, s3, v10, v4
	v_lshl_add_u64 v[10:11], v[0:1], 2, s[0:1]
	s_ashr_i32 s1, s5, 31
	s_mov_b32 s0, s5
	global_load_b32 v6, v[10:11], off
	v_mul_lo_u32 v0, v7, s4
	v_mov_b32_e32 v4, 0
	v_mul_lo_u32 v8, v9, s7
	s_delay_alu instid0(VALU_DEP_3) | instskip(NEXT) | instid1(VALU_DEP_3)
	v_sub_nc_u32_e32 v0, v2, v0
	v_ashrrev_i64 v[4:5], 29, v[4:5]
	s_delay_alu instid0(VALU_DEP_2) | instskip(SKIP_2) | instid1(VALU_DEP_4)
	v_subrev_nc_u32_e32 v9, s4, v0
	v_cmp_le_u32_e32 vcc_lo, s4, v0
	v_add_nc_u32_e32 v3, 1, v7
	v_add_nc_u64_e32 v[4:5], s[12:13], v[4:5]
	s_delay_alu instid0(VALU_DEP_2) | instskip(SKIP_4) | instid1(VALU_DEP_1)
	v_dual_cndmask_b32 v0, v0, v9 :: v_dual_cndmask_b32 v3, v7, v3
	v_xor_b32_e32 v9, s2, v1
	global_load_b64 v[4:5], v[4:5], off
	v_cmp_le_u32_e32 vcc_lo, s4, v0
	v_add_nc_u32_e32 v7, 1, v3
	v_dual_cndmask_b32 v0, v3, v7 :: v_dual_sub_nc_u32 v7, v2, v8
	s_delay_alu instid0(VALU_DEP_1) | instskip(NEXT) | instid1(VALU_DEP_2)
	v_xor_b32_e32 v0, v0, v9
	v_cmp_le_u32_e32 vcc_lo, s7, v7
	s_wait_loadcnt 0x0
	v_mul_u64_e32 v[2:3], s[0:1], v[4:5]
	v_subrev_nc_u32_e32 v4, s7, v7
	v_sub_nc_u32_e32 v0, v0, v9
	s_mul_i32 s0, s6, s5
	s_delay_alu instid0(VALU_DEP_2) | instskip(NEXT) | instid1(VALU_DEP_2)
	v_cndmask_b32_e32 v5, v7, v4, vcc_lo
	v_mul_lo_u32 v4, s0, v0
	s_delay_alu instid0(VALU_DEP_2) | instskip(SKIP_1) | instid1(VALU_DEP_2)
	v_subrev_nc_u32_e32 v0, s7, v5
	v_cmp_le_u32_e32 vcc_lo, s7, v5
	v_cndmask_b32_e32 v0, v5, v0, vcc_lo
	s_delay_alu instid0(VALU_DEP_1) | instskip(NEXT) | instid1(VALU_DEP_1)
	v_dual_ashrrev_i32 v5, 31, v4 :: v_dual_bitop2_b32 v0, v0, v1 bitop3:0x14
	v_lshl_add_u64 v[4:5], v[4:5], 2, s[10:11]
	s_delay_alu instid0(VALU_DEP_2) | instskip(NEXT) | instid1(VALU_DEP_1)
	v_sub_nc_u32_e32 v0, v0, v1
	v_ashrrev_i32_e32 v1, 31, v0
	s_delay_alu instid0(VALU_DEP_3) | instskip(NEXT) | instid1(VALU_DEP_1)
	v_lshl_add_u64 v[2:3], v[2:3], 2, v[4:5]
	v_lshl_add_u64 v[0:1], v[0:1], 2, v[2:3]
	global_atomic_max_i32 v[0:1], v6, off scope:SCOPE_DEV
.LBB4_11:
	s_endpgm
	.section	.rodata,"a",@progbits
	.p2align	6, 0x0
	.amdhsa_kernel _Z14scatter_kernelIiL13ReductionType4EEvPKT_10TensorInfoIllEPS1_iiii
		.amdhsa_group_segment_fixed_size 0
		.amdhsa_private_segment_fixed_size 0
		.amdhsa_kernarg_size 704
		.amdhsa_user_sgpr_count 2
		.amdhsa_user_sgpr_dispatch_ptr 0
		.amdhsa_user_sgpr_queue_ptr 0
		.amdhsa_user_sgpr_kernarg_segment_ptr 1
		.amdhsa_user_sgpr_dispatch_id 0
		.amdhsa_user_sgpr_kernarg_preload_length 0
		.amdhsa_user_sgpr_kernarg_preload_offset 0
		.amdhsa_user_sgpr_private_segment_size 0
		.amdhsa_wavefront_size32 1
		.amdhsa_uses_dynamic_stack 0
		.amdhsa_enable_private_segment 0
		.amdhsa_system_sgpr_workgroup_id_x 1
		.amdhsa_system_sgpr_workgroup_id_y 0
		.amdhsa_system_sgpr_workgroup_id_z 0
		.amdhsa_system_sgpr_workgroup_info 0
		.amdhsa_system_vgpr_workitem_id 0
		.amdhsa_next_free_vgpr 24
		.amdhsa_next_free_sgpr 38
		.amdhsa_named_barrier_count 0
		.amdhsa_reserve_vcc 1
		.amdhsa_float_round_mode_32 0
		.amdhsa_float_round_mode_16_64 0
		.amdhsa_float_denorm_mode_32 3
		.amdhsa_float_denorm_mode_16_64 3
		.amdhsa_fp16_overflow 0
		.amdhsa_memory_ordered 1
		.amdhsa_forward_progress 1
		.amdhsa_inst_pref_size 12
		.amdhsa_round_robin_scheduling 0
		.amdhsa_exception_fp_ieee_invalid_op 0
		.amdhsa_exception_fp_denorm_src 0
		.amdhsa_exception_fp_ieee_div_zero 0
		.amdhsa_exception_fp_ieee_overflow 0
		.amdhsa_exception_fp_ieee_underflow 0
		.amdhsa_exception_fp_ieee_inexact 0
		.amdhsa_exception_int_div_zero 0
	.end_amdhsa_kernel
	.section	.text._Z14scatter_kernelIiL13ReductionType4EEvPKT_10TensorInfoIllEPS1_iiii,"axG",@progbits,_Z14scatter_kernelIiL13ReductionType4EEvPKT_10TensorInfoIllEPS1_iiii,comdat
.Lfunc_end4:
	.size	_Z14scatter_kernelIiL13ReductionType4EEvPKT_10TensorInfoIllEPS1_iiii, .Lfunc_end4-_Z14scatter_kernelIiL13ReductionType4EEvPKT_10TensorInfoIllEPS1_iiii
                                        ; -- End function
	.set _Z14scatter_kernelIiL13ReductionType4EEvPKT_10TensorInfoIllEPS1_iiii.num_vgpr, 24
	.set _Z14scatter_kernelIiL13ReductionType4EEvPKT_10TensorInfoIllEPS1_iiii.num_agpr, 0
	.set _Z14scatter_kernelIiL13ReductionType4EEvPKT_10TensorInfoIllEPS1_iiii.numbered_sgpr, 38
	.set _Z14scatter_kernelIiL13ReductionType4EEvPKT_10TensorInfoIllEPS1_iiii.num_named_barrier, 0
	.set _Z14scatter_kernelIiL13ReductionType4EEvPKT_10TensorInfoIllEPS1_iiii.private_seg_size, 0
	.set _Z14scatter_kernelIiL13ReductionType4EEvPKT_10TensorInfoIllEPS1_iiii.uses_vcc, 1
	.set _Z14scatter_kernelIiL13ReductionType4EEvPKT_10TensorInfoIllEPS1_iiii.uses_flat_scratch, 0
	.set _Z14scatter_kernelIiL13ReductionType4EEvPKT_10TensorInfoIllEPS1_iiii.has_dyn_sized_stack, 0
	.set _Z14scatter_kernelIiL13ReductionType4EEvPKT_10TensorInfoIllEPS1_iiii.has_recursion, 0
	.set _Z14scatter_kernelIiL13ReductionType4EEvPKT_10TensorInfoIllEPS1_iiii.has_indirect_call, 0
	.section	.AMDGPU.csdata,"",@progbits
; Kernel info:
; codeLenInByte = 1460
; TotalNumSgprs: 40
; NumVgprs: 24
; ScratchSize: 0
; MemoryBound: 0
; FloatMode: 240
; IeeeMode: 1
; LDSByteSize: 0 bytes/workgroup (compile time only)
; SGPRBlocks: 0
; VGPRBlocks: 1
; NumSGPRsForWavesPerEU: 40
; NumVGPRsForWavesPerEU: 24
; NamedBarCnt: 0
; Occupancy: 16
; WaveLimiterHint : 1
; COMPUTE_PGM_RSRC2:SCRATCH_EN: 0
; COMPUTE_PGM_RSRC2:USER_SGPR: 2
; COMPUTE_PGM_RSRC2:TRAP_HANDLER: 0
; COMPUTE_PGM_RSRC2:TGID_X_EN: 1
; COMPUTE_PGM_RSRC2:TGID_Y_EN: 0
; COMPUTE_PGM_RSRC2:TGID_Z_EN: 0
; COMPUTE_PGM_RSRC2:TIDIG_COMP_CNT: 0
	.section	.text._Z14scatter_kernelIlL13ReductionType1EEvPKT_10TensorInfoIllEPS1_iiii,"axG",@progbits,_Z14scatter_kernelIlL13ReductionType1EEvPKT_10TensorInfoIllEPS1_iiii,comdat
	.protected	_Z14scatter_kernelIlL13ReductionType1EEvPKT_10TensorInfoIllEPS1_iiii ; -- Begin function _Z14scatter_kernelIlL13ReductionType1EEvPKT_10TensorInfoIllEPS1_iiii
	.globl	_Z14scatter_kernelIlL13ReductionType1EEvPKT_10TensorInfoIllEPS1_iiii
	.p2align	8
	.type	_Z14scatter_kernelIlL13ReductionType1EEvPKT_10TensorInfoIllEPS1_iiii,@function
_Z14scatter_kernelIlL13ReductionType1EEvPKT_10TensorInfoIllEPS1_iiii: ; @_Z14scatter_kernelIlL13ReductionType1EEvPKT_10TensorInfoIllEPS1_iiii
; %bb.0:
	s_clause 0x1
	s_load_b32 s2, s[0:1], 0x1cc
	s_load_b128 s[4:7], s[0:1], 0x1b0
	s_bfe_u32 s3, ttmp6, 0x4000c
	s_and_b32 s8, ttmp6, 15
	s_add_co_i32 s3, s3, 1
	s_getreg_b32 s9, hwreg(HW_REG_IB_STS2, 6, 4)
	s_mul_i32 s3, ttmp9, s3
	s_mov_b32 s11, 0
	s_add_co_i32 s8, s8, s3
	s_wait_kmcnt 0x0
	s_and_b32 s2, s2, 0xffff
	s_cmp_eq_u32 s9, 0
	s_cselect_b32 s3, ttmp9, s8
	s_delay_alu instid0(SALU_CYCLE_1) | instskip(SKIP_1) | instid1(VALU_DEP_1)
	v_mad_u32 v0, s3, s2, v0
	s_mov_b32 s2, exec_lo
	v_cmpx_gt_i32_e64 s7, v0
	s_cbranch_execz .LBB5_12
; %bb.1:
	s_abs_i32 s7, s5
	s_mul_i32 s24, s5, s4
	s_cvt_f32_u32 s2, s7
	s_abs_i32 s4, s24
	s_load_b32 s16, s[0:1], 0x1a0
	s_cvt_f32_u32 s3, s4
	v_rcp_iflag_f32_e32 v1, s2
	s_sub_co_i32 s10, 0, s7
	s_sub_co_i32 s12, 0, s4
	v_rcp_iflag_f32_e32 v2, s3
	v_mov_b64_e32 v[4:5], 0
	s_add_nc_u64 s[8:9], s[0:1], 8
	s_mov_b32 s13, s11
	v_readfirstlane_b32 s2, v1
	v_dual_mov_b32 v6, 0 :: v_dual_sub_nc_u32 v1, 0, v0
	s_delay_alu instid0(TRANS32_DEP_1) | instskip(SKIP_3) | instid1(SALU_CYCLE_1)
	v_readfirstlane_b32 s3, v2
	s_mul_f32 s2, s2, 0x4f7ffffe
	v_dual_mov_b32 v3, v6 :: v_dual_max_i32 v2, v0, v1
	s_mul_f32 s3, s3, 0x4f7ffffe
	s_cvt_u32_f32 s2, s2
	v_ashrrev_i32_e32 v1, 31, v0
	s_delay_alu instid0(SALU_CYCLE_1) | instskip(NEXT) | instid1(SALU_CYCLE_1)
	s_cvt_u32_f32 s3, s3
	s_mul_i32 s10, s10, s2
	s_delay_alu instid0(SALU_CYCLE_1) | instskip(NEXT) | instid1(SALU_CYCLE_1)
	s_mul_hi_u32 s10, s2, s10
	s_mul_i32 s12, s12, s3
	s_add_co_i32 s10, s2, s10
	s_mul_hi_u32 s2, s3, s12
	s_delay_alu instid0(SALU_CYCLE_1)
	s_add_co_i32 s12, s3, s2
	s_wait_kmcnt 0x0
	s_cmp_lt_i32 s16, 2
	s_cbranch_scc1 .LBB5_9
; %bb.2:
	s_add_co_i32 s2, s16, -1
	s_mov_b32 s3, 0
	v_mov_b64_e32 v[4:5], 0
	v_mov_b64_e32 v[8:9], v[0:1]
	s_lshl_b64 s[18:19], s[2:3], 3
	s_mov_b64 s[14:15], 0xffffffff
	s_add_nc_u64 s[18:19], s[8:9], s[18:19]
	s_add_co_i32 s25, s16, 1
	s_add_nc_u64 s[16:17], s[18:19], 8
.LBB5_3:                                ; =>This Inner Loop Header: Depth=1
	s_load_b64 s[18:19], s[16:17], 0x0
                                        ; implicit-def: $vgpr10_vgpr11
	s_mov_b32 s2, exec_lo
	s_wait_kmcnt 0x0
	s_delay_alu instid0(VALU_DEP_1) | instskip(NEXT) | instid1(VALU_DEP_1)
	v_or_b32_e32 v7, s19, v9
	v_cmpx_ne_u64_e32 0, v[6:7]
	s_xor_b32 s26, exec_lo, s2
	s_cbranch_execz .LBB5_5
; %bb.4:                                ;   in Loop: Header=BB5_3 Depth=1
	s_ashr_i32 s20, s19, 31
	v_dual_mov_b32 v15, v6 :: v_dual_ashrrev_i32 v10, 31, v9
	s_mov_b32 s21, s20
	v_mov_b32_e32 v23, v6
	s_add_nc_u64 s[22:23], s[18:19], s[20:21]
	s_delay_alu instid0(VALU_DEP_2) | instskip(SKIP_1) | instid1(SALU_CYCLE_1)
	v_mov_b32_e32 v11, v10
	s_xor_b64 s[22:23], s[22:23], s[20:21]
	s_cvt_f32_u32 s2, s22
	s_cvt_f32_u32 s21, s23
	s_sub_nc_u64 s[30:31], 0, s[22:23]
	v_add_nc_u64_e32 v[12:13], v[8:9], v[10:11]
	v_mov_b32_e32 v19, v6
	s_fmamk_f32 s2, s21, 0x4f800000, s2
	s_delay_alu instid0(SALU_CYCLE_3) | instskip(NEXT) | instid1(VALU_DEP_2)
	v_s_rcp_f32 s2, s2
	v_xor_b32_e32 v14, v12, v10
	s_delay_alu instid0(VALU_DEP_3) | instskip(NEXT) | instid1(TRANS32_DEP_1)
	v_xor_b32_e32 v18, v13, v10
	s_mul_f32 s2, s2, 0x5f7ffffc
	s_delay_alu instid0(SALU_CYCLE_3) | instskip(NEXT) | instid1(SALU_CYCLE_3)
	s_mul_f32 s21, s2, 0x2f800000
	s_trunc_f32 s21, s21
	s_delay_alu instid0(SALU_CYCLE_3) | instskip(SKIP_1) | instid1(SALU_CYCLE_2)
	s_fmamk_f32 s2, s21, 0xcf800000, s2
	s_cvt_u32_f32 s29, s21
	s_cvt_u32_f32 s28, s2
	s_delay_alu instid0(SALU_CYCLE_3) | instskip(NEXT) | instid1(SALU_CYCLE_1)
	s_mul_u64 s[34:35], s[30:31], s[28:29]
	s_mul_hi_u32 s37, s28, s35
	s_mul_i32 s36, s28, s35
	s_mul_hi_u32 s2, s28, s34
	s_mul_i32 s27, s29, s34
	s_add_nc_u64 s[36:37], s[2:3], s[36:37]
	s_mul_hi_u32 s21, s29, s34
	s_mul_hi_u32 s33, s29, s35
	s_add_co_u32 s2, s36, s27
	s_add_co_ci_u32 s2, s37, s21
	s_mul_i32 s34, s29, s35
	s_add_co_ci_u32 s35, s33, 0
	s_delay_alu instid0(SALU_CYCLE_1) | instskip(NEXT) | instid1(SALU_CYCLE_1)
	s_add_nc_u64 s[34:35], s[2:3], s[34:35]
	s_add_co_u32 s28, s28, s34
	s_cselect_b32 s2, -1, 0
	s_delay_alu instid0(SALU_CYCLE_1) | instskip(SKIP_1) | instid1(SALU_CYCLE_1)
	s_cmp_lg_u32 s2, 0
	s_add_co_ci_u32 s29, s29, s35
	s_mul_u64 s[30:31], s[30:31], s[28:29]
	s_delay_alu instid0(SALU_CYCLE_1)
	s_mul_hi_u32 s35, s28, s31
	s_mul_i32 s34, s28, s31
	s_mul_hi_u32 s2, s28, s30
	s_mul_i32 s27, s29, s30
	s_add_nc_u64 s[34:35], s[2:3], s[34:35]
	s_mul_hi_u32 s21, s29, s30
	s_mul_hi_u32 s33, s29, s31
	s_add_co_u32 s2, s34, s27
	s_add_co_ci_u32 s2, s35, s21
	s_mul_i32 s30, s29, s31
	s_add_co_ci_u32 s31, s33, 0
	s_delay_alu instid0(SALU_CYCLE_1) | instskip(NEXT) | instid1(SALU_CYCLE_1)
	s_add_nc_u64 s[30:31], s[2:3], s[30:31]
	s_add_co_u32 s28, s28, s30
	s_cselect_b32 s2, -1, 0
	v_mul_hi_u32 v22, v14, s28
	s_cmp_lg_u32 s2, 0
	s_add_co_ci_u32 s2, s29, s31
	s_and_b64 s[30:31], s[28:29], s[14:15]
	v_mul_u64_e32 v[16:17], s[2:3], v[14:15]
	v_mul_u64_e32 v[12:13], s[30:31], v[18:19]
	;; [unrolled: 1-line block ×3, first 2 shown]
	s_delay_alu instid0(VALU_DEP_3) | instskip(NEXT) | instid1(VALU_DEP_1)
	v_add_nc_u64_e32 v[16:17], v[22:23], v[16:17]
	v_add_co_u32 v7, vcc_lo, v16, v12
	s_delay_alu instid0(VALU_DEP_2) | instskip(NEXT) | instid1(VALU_DEP_4)
	v_add_co_ci_u32_e32 v22, vcc_lo, v17, v13, vcc_lo
	v_add_co_ci_u32_e32 v21, vcc_lo, 0, v21, vcc_lo
	s_delay_alu instid0(VALU_DEP_1) | instskip(NEXT) | instid1(VALU_DEP_1)
	v_add_nc_u64_e32 v[12:13], v[22:23], v[20:21]
	v_mul_u64_e32 v[16:17], s[22:23], v[12:13]
	s_delay_alu instid0(VALU_DEP_1) | instskip(NEXT) | instid1(VALU_DEP_2)
	v_sub_nc_u32_e32 v7, v18, v17
	v_sub_co_u32 v11, vcc_lo, v14, v16
	s_delay_alu instid0(VALU_DEP_1) | instskip(NEXT) | instid1(VALU_DEP_3)
	v_sub_co_ci_u32_e64 v18, null, v18, v17, vcc_lo
	v_subrev_co_ci_u32_e64 v7, null, s23, v7, vcc_lo
	s_delay_alu instid0(VALU_DEP_3) | instskip(SKIP_1) | instid1(VALU_DEP_3)
	v_sub_co_u32 v14, s2, v11, s22
	v_add_nc_u64_e32 v[16:17], 1, v[12:13]
	v_subrev_co_ci_u32_e64 v7, null, 0, v7, s2
	s_delay_alu instid0(VALU_DEP_3) | instskip(SKIP_1) | instid1(VALU_DEP_3)
	v_cmp_le_u32_e32 vcc_lo, s22, v14
	v_cndmask_b32_e64 v14, 0, -1, vcc_lo
	v_cmp_le_u32_e32 vcc_lo, s23, v7
	v_cndmask_b32_e64 v15, 0, -1, vcc_lo
	;; [unrolled: 2-line block ×4, first 2 shown]
	v_cmp_eq_u32_e32 vcc_lo, s23, v7
	v_cndmask_b32_e32 v7, v15, v14, vcc_lo
	v_cmp_eq_u32_e32 vcc_lo, s23, v18
	v_add_nc_u64_e32 v[14:15], 2, v[12:13]
	v_cndmask_b32_e32 v11, v19, v11, vcc_lo
	s_delay_alu instid0(VALU_DEP_4) | instskip(NEXT) | instid1(VALU_DEP_2)
	v_cmp_ne_u32_e32 vcc_lo, 0, v7
	v_cmp_ne_u32_e64 s2, 0, v11
	s_delay_alu instid0(VALU_DEP_4) | instskip(NEXT) | instid1(VALU_DEP_1)
	v_dual_cndmask_b32 v7, v17, v15, vcc_lo :: v_dual_cndmask_b32 v11, v16, v14, vcc_lo
	v_dual_cndmask_b32 v7, v13, v7, s2 :: v_dual_bitop2_b32 v10, s20, v10 bitop3:0x14
	s_delay_alu instid0(VALU_DEP_1) | instskip(NEXT) | instid1(VALU_DEP_2)
	v_dual_cndmask_b32 v12, v12, v11, s2 :: v_dual_mov_b32 v11, v10
	v_xor_b32_e32 v13, v7, v10
	s_delay_alu instid0(VALU_DEP_2) | instskip(NEXT) | instid1(VALU_DEP_1)
	v_xor_b32_e32 v12, v12, v10
	v_sub_nc_u64_e32 v[10:11], v[12:13], v[10:11]
.LBB5_5:                                ;   in Loop: Header=BB5_3 Depth=1
	s_and_not1_saveexec_b32 s2, s26
	s_cbranch_execz .LBB5_7
; %bb.6:                                ;   in Loop: Header=BB5_3 Depth=1
	v_cvt_f32_u32_e32 v7, s18
	s_sub_co_i32 s20, 0, s18
	s_delay_alu instid0(VALU_DEP_1) | instskip(SKIP_1) | instid1(TRANS32_DEP_1)
	v_rcp_iflag_f32_e32 v7, v7
	v_nop
	v_mul_f32_e32 v7, 0x4f7ffffe, v7
	s_delay_alu instid0(VALU_DEP_1) | instskip(NEXT) | instid1(VALU_DEP_1)
	v_cvt_u32_f32_e32 v7, v7
	v_mul_lo_u32 v10, s20, v7
	s_delay_alu instid0(VALU_DEP_1) | instskip(NEXT) | instid1(VALU_DEP_1)
	v_mul_hi_u32 v10, v7, v10
	v_add_nc_u32_e32 v7, v7, v10
	s_delay_alu instid0(VALU_DEP_1) | instskip(NEXT) | instid1(VALU_DEP_1)
	v_mul_hi_u32 v7, v8, v7
	v_mul_lo_u32 v10, v7, s18
	s_delay_alu instid0(VALU_DEP_1) | instskip(NEXT) | instid1(VALU_DEP_1)
	v_dual_add_nc_u32 v11, 1, v7 :: v_dual_sub_nc_u32 v10, v8, v10
	v_subrev_nc_u32_e32 v12, s18, v10
	v_cmp_le_u32_e32 vcc_lo, s18, v10
	s_delay_alu instid0(VALU_DEP_2) | instskip(NEXT) | instid1(VALU_DEP_1)
	v_dual_cndmask_b32 v10, v10, v12 :: v_dual_cndmask_b32 v7, v7, v11
	v_cmp_le_u32_e32 vcc_lo, s18, v10
	s_delay_alu instid0(VALU_DEP_2) | instskip(NEXT) | instid1(VALU_DEP_1)
	v_add_nc_u32_e32 v11, 1, v7
	v_dual_cndmask_b32 v10, v7, v11 :: v_dual_mov_b32 v11, v6
.LBB5_7:                                ;   in Loop: Header=BB5_3 Depth=1
	s_or_b32 exec_lo, exec_lo, s2
	s_delay_alu instid0(VALU_DEP_1)
	v_mul_u64_e32 v[12:13], s[18:19], v[10:11]
	s_load_b64 s[18:19], s[16:17], 0xc8
	s_add_co_i32 s25, s25, -1
	s_wait_xcnt 0x0
	s_add_nc_u64 s[16:17], s[16:17], -8
	s_cmp_gt_u32 s25, 2
	s_delay_alu instid0(VALU_DEP_1) | instskip(SKIP_1) | instid1(VALU_DEP_1)
	v_sub_nc_u64_e32 v[8:9], v[8:9], v[12:13]
	s_wait_kmcnt 0x0
	v_mad_nc_u64_u32 v[4:5], s18, v8, v[4:5]
	s_delay_alu instid0(VALU_DEP_1) | instskip(NEXT) | instid1(VALU_DEP_1)
	v_mad_u32 v5, s19, v8, v5
	v_mad_u32 v5, s18, v9, v5
	s_cbranch_scc0 .LBB5_10
; %bb.8:                                ;   in Loop: Header=BB5_3 Depth=1
	v_mov_b64_e32 v[8:9], v[10:11]
	s_branch .LBB5_3
.LBB5_9:
	v_mov_b64_e32 v[10:11], v[0:1]
.LBB5_10:
	v_mul_u64_e32 v[8:9], s[12:13], v[2:3]
	v_mul_u64_e32 v[6:7], s[10:11], v[2:3]
	s_clause 0x2
	s_load_b64 s[10:11], s[0:1], 0x1a8
	s_load_b32 s3, s[8:9], 0xd0
	s_load_b64 s[12:13], s[8:9], 0x0
	s_ashr_i32 s2, s24, 31
	s_wait_xcnt 0x0
	s_load_b64 s[0:1], s[0:1], 0x0
	s_wait_kmcnt 0x0
	v_mad_u32 v5, s3, v10, v4
	s_ashr_i32 s3, s5, 31
	s_delay_alu instid0(VALU_DEP_3) | instskip(SKIP_1) | instid1(VALU_DEP_4)
	v_mul_lo_u32 v3, v9, s4
	v_mov_b32_e32 v4, 0
	v_mul_lo_u32 v7, v7, s7
	s_delay_alu instid0(VALU_DEP_3) | instskip(NEXT) | instid1(VALU_DEP_3)
	v_sub_nc_u32_e32 v3, v2, v3
	v_ashrrev_i64 v[4:5], 29, v[4:5]
	s_delay_alu instid0(VALU_DEP_3) | instskip(NEXT) | instid1(VALU_DEP_3)
	v_sub_nc_u32_e32 v7, v2, v7
	v_subrev_nc_u32_e32 v8, s4, v3
	v_cmp_le_u32_e32 vcc_lo, s4, v3
	v_add_nc_u32_e32 v6, 1, v9
	v_add_nc_u64_e32 v[4:5], s[12:13], v[4:5]
	s_delay_alu instid0(VALU_DEP_2)
	v_dual_cndmask_b32 v3, v3, v8 :: v_dual_cndmask_b32 v6, v9, v6
	v_xor_b32_e32 v9, s2, v1
	s_mov_b32 s2, s5
	global_load_b64 v[4:5], v[4:5], off
	v_cmp_le_u32_e32 vcc_lo, s4, v3
	v_add_nc_u32_e32 v8, 1, v6
	s_delay_alu instid0(VALU_DEP_1)
	v_cndmask_b32_e32 v6, v6, v8, vcc_lo
	v_cmp_le_u32_e32 vcc_lo, s7, v7
	s_wait_loadcnt 0x0
	v_mul_u64_e32 v[2:3], s[2:3], v[4:5]
	v_subrev_nc_u32_e32 v5, s7, v7
	s_mul_i32 s2, s6, s5
	s_delay_alu instid0(VALU_DEP_1) | instskip(NEXT) | instid1(VALU_DEP_1)
	v_cndmask_b32_e32 v5, v7, v5, vcc_lo
	v_cmp_le_u32_e32 vcc_lo, s7, v5
	v_xor_b32_e32 v4, v6, v9
	v_subrev_nc_u32_e32 v6, s7, v5
	s_delay_alu instid0(VALU_DEP_1) | instskip(NEXT) | instid1(VALU_DEP_1)
	v_dual_cndmask_b32 v6, v5, v6, vcc_lo :: v_dual_sub_nc_u32 v4, v4, v9
	v_xor_b32_e32 v6, v6, v1
	s_delay_alu instid0(VALU_DEP_2) | instskip(NEXT) | instid1(VALU_DEP_2)
	v_mul_lo_u32 v4, s2, v4
	v_sub_nc_u32_e32 v6, v6, v1
	v_lshl_add_u64 v[0:1], v[0:1], 3, s[0:1]
	s_mov_b32 s0, 0
	s_delay_alu instid0(VALU_DEP_2) | instskip(NEXT) | instid1(VALU_DEP_1)
	v_dual_ashrrev_i32 v7, 31, v6 :: v_dual_ashrrev_i32 v5, 31, v4
	v_lshl_add_u64 v[4:5], v[4:5], 3, s[10:11]
	s_delay_alu instid0(VALU_DEP_1) | instskip(NEXT) | instid1(VALU_DEP_1)
	v_lshl_add_u64 v[2:3], v[2:3], 3, v[4:5]
	v_lshl_add_u64 v[4:5], v[6:7], 3, v[2:3]
	global_load_b64 v[6:7], v[0:1], off
	global_load_b64 v[2:3], v[4:5], off scope:SCOPE_SYS
.LBB5_11:                               ; =>This Inner Loop Header: Depth=1
	s_wait_loadcnt 0x0
	s_delay_alu instid0(VALU_DEP_1)
	v_mul_u64_e32 v[0:1], v[2:3], v[6:7]
	global_atomic_cmpswap_b64 v[0:1], v[4:5], v[0:3], off th:TH_ATOMIC_RETURN scope:SCOPE_DEV
	s_wait_loadcnt 0x0
	v_cmp_eq_u64_e32 vcc_lo, v[2:3], v[0:1]
	v_mov_b64_e32 v[2:3], v[0:1]
	s_or_b32 s0, vcc_lo, s0
	s_delay_alu instid0(SALU_CYCLE_1)
	s_and_not1_b32 exec_lo, exec_lo, s0
	s_cbranch_execnz .LBB5_11
.LBB5_12:
	s_endpgm
	.section	.rodata,"a",@progbits
	.p2align	6, 0x0
	.amdhsa_kernel _Z14scatter_kernelIlL13ReductionType1EEvPKT_10TensorInfoIllEPS1_iiii
		.amdhsa_group_segment_fixed_size 0
		.amdhsa_private_segment_fixed_size 0
		.amdhsa_kernarg_size 704
		.amdhsa_user_sgpr_count 2
		.amdhsa_user_sgpr_dispatch_ptr 0
		.amdhsa_user_sgpr_queue_ptr 0
		.amdhsa_user_sgpr_kernarg_segment_ptr 1
		.amdhsa_user_sgpr_dispatch_id 0
		.amdhsa_user_sgpr_kernarg_preload_length 0
		.amdhsa_user_sgpr_kernarg_preload_offset 0
		.amdhsa_user_sgpr_private_segment_size 0
		.amdhsa_wavefront_size32 1
		.amdhsa_uses_dynamic_stack 0
		.amdhsa_enable_private_segment 0
		.amdhsa_system_sgpr_workgroup_id_x 1
		.amdhsa_system_sgpr_workgroup_id_y 0
		.amdhsa_system_sgpr_workgroup_id_z 0
		.amdhsa_system_sgpr_workgroup_info 0
		.amdhsa_system_vgpr_workitem_id 0
		.amdhsa_next_free_vgpr 24
		.amdhsa_next_free_sgpr 38
		.amdhsa_named_barrier_count 0
		.amdhsa_reserve_vcc 1
		.amdhsa_float_round_mode_32 0
		.amdhsa_float_round_mode_16_64 0
		.amdhsa_float_denorm_mode_32 3
		.amdhsa_float_denorm_mode_16_64 3
		.amdhsa_fp16_overflow 0
		.amdhsa_memory_ordered 1
		.amdhsa_forward_progress 1
		.amdhsa_inst_pref_size 12
		.amdhsa_round_robin_scheduling 0
		.amdhsa_exception_fp_ieee_invalid_op 0
		.amdhsa_exception_fp_denorm_src 0
		.amdhsa_exception_fp_ieee_div_zero 0
		.amdhsa_exception_fp_ieee_overflow 0
		.amdhsa_exception_fp_ieee_underflow 0
		.amdhsa_exception_fp_ieee_inexact 0
		.amdhsa_exception_int_div_zero 0
	.end_amdhsa_kernel
	.section	.text._Z14scatter_kernelIlL13ReductionType1EEvPKT_10TensorInfoIllEPS1_iiii,"axG",@progbits,_Z14scatter_kernelIlL13ReductionType1EEvPKT_10TensorInfoIllEPS1_iiii,comdat
.Lfunc_end5:
	.size	_Z14scatter_kernelIlL13ReductionType1EEvPKT_10TensorInfoIllEPS1_iiii, .Lfunc_end5-_Z14scatter_kernelIlL13ReductionType1EEvPKT_10TensorInfoIllEPS1_iiii
                                        ; -- End function
	.set _Z14scatter_kernelIlL13ReductionType1EEvPKT_10TensorInfoIllEPS1_iiii.num_vgpr, 24
	.set _Z14scatter_kernelIlL13ReductionType1EEvPKT_10TensorInfoIllEPS1_iiii.num_agpr, 0
	.set _Z14scatter_kernelIlL13ReductionType1EEvPKT_10TensorInfoIllEPS1_iiii.numbered_sgpr, 38
	.set _Z14scatter_kernelIlL13ReductionType1EEvPKT_10TensorInfoIllEPS1_iiii.num_named_barrier, 0
	.set _Z14scatter_kernelIlL13ReductionType1EEvPKT_10TensorInfoIllEPS1_iiii.private_seg_size, 0
	.set _Z14scatter_kernelIlL13ReductionType1EEvPKT_10TensorInfoIllEPS1_iiii.uses_vcc, 1
	.set _Z14scatter_kernelIlL13ReductionType1EEvPKT_10TensorInfoIllEPS1_iiii.uses_flat_scratch, 0
	.set _Z14scatter_kernelIlL13ReductionType1EEvPKT_10TensorInfoIllEPS1_iiii.has_dyn_sized_stack, 0
	.set _Z14scatter_kernelIlL13ReductionType1EEvPKT_10TensorInfoIllEPS1_iiii.has_recursion, 0
	.set _Z14scatter_kernelIlL13ReductionType1EEvPKT_10TensorInfoIllEPS1_iiii.has_indirect_call, 0
	.section	.AMDGPU.csdata,"",@progbits
; Kernel info:
; codeLenInByte = 1524
; TotalNumSgprs: 40
; NumVgprs: 24
; ScratchSize: 0
; MemoryBound: 0
; FloatMode: 240
; IeeeMode: 1
; LDSByteSize: 0 bytes/workgroup (compile time only)
; SGPRBlocks: 0
; VGPRBlocks: 1
; NumSGPRsForWavesPerEU: 40
; NumVGPRsForWavesPerEU: 24
; NamedBarCnt: 0
; Occupancy: 16
; WaveLimiterHint : 1
; COMPUTE_PGM_RSRC2:SCRATCH_EN: 0
; COMPUTE_PGM_RSRC2:USER_SGPR: 2
; COMPUTE_PGM_RSRC2:TRAP_HANDLER: 0
; COMPUTE_PGM_RSRC2:TGID_X_EN: 1
; COMPUTE_PGM_RSRC2:TGID_Y_EN: 0
; COMPUTE_PGM_RSRC2:TGID_Z_EN: 0
; COMPUTE_PGM_RSRC2:TIDIG_COMP_CNT: 0
	.section	.text._Z14scatter_kernelIlL13ReductionType2EEvPKT_10TensorInfoIllEPS1_iiii,"axG",@progbits,_Z14scatter_kernelIlL13ReductionType2EEvPKT_10TensorInfoIllEPS1_iiii,comdat
	.protected	_Z14scatter_kernelIlL13ReductionType2EEvPKT_10TensorInfoIllEPS1_iiii ; -- Begin function _Z14scatter_kernelIlL13ReductionType2EEvPKT_10TensorInfoIllEPS1_iiii
	.globl	_Z14scatter_kernelIlL13ReductionType2EEvPKT_10TensorInfoIllEPS1_iiii
	.p2align	8
	.type	_Z14scatter_kernelIlL13ReductionType2EEvPKT_10TensorInfoIllEPS1_iiii,@function
_Z14scatter_kernelIlL13ReductionType2EEvPKT_10TensorInfoIllEPS1_iiii: ; @_Z14scatter_kernelIlL13ReductionType2EEvPKT_10TensorInfoIllEPS1_iiii
; %bb.0:
	s_clause 0x1
	s_load_b32 s2, s[0:1], 0x1cc
	s_load_b128 s[4:7], s[0:1], 0x1b0
	s_bfe_u32 s3, ttmp6, 0x4000c
	s_and_b32 s8, ttmp6, 15
	s_add_co_i32 s3, s3, 1
	s_getreg_b32 s9, hwreg(HW_REG_IB_STS2, 6, 4)
	s_mul_i32 s3, ttmp9, s3
	s_mov_b32 s11, 0
	s_add_co_i32 s8, s8, s3
	s_wait_kmcnt 0x0
	s_and_b32 s2, s2, 0xffff
	s_cmp_eq_u32 s9, 0
	s_cselect_b32 s3, ttmp9, s8
	s_delay_alu instid0(SALU_CYCLE_1) | instskip(SKIP_1) | instid1(VALU_DEP_1)
	v_mad_u32 v0, s3, s2, v0
	s_mov_b32 s2, exec_lo
	v_cmpx_gt_i32_e64 s7, v0
	s_cbranch_execz .LBB6_16
; %bb.1:
	s_abs_i32 s7, s5
	s_mul_i32 s24, s5, s4
	s_cvt_f32_u32 s2, s7
	s_abs_i32 s4, s24
	s_load_b32 s16, s[0:1], 0x1a0
	s_cvt_f32_u32 s3, s4
	v_rcp_iflag_f32_e32 v1, s2
	s_sub_co_i32 s10, 0, s7
	s_sub_co_i32 s12, 0, s4
	v_rcp_iflag_f32_e32 v2, s3
	v_mov_b64_e32 v[4:5], 0
	s_add_nc_u64 s[8:9], s[0:1], 8
	s_mov_b32 s13, s11
	v_readfirstlane_b32 s2, v1
	v_dual_mov_b32 v6, 0 :: v_dual_sub_nc_u32 v1, 0, v0
	s_delay_alu instid0(TRANS32_DEP_1) | instskip(SKIP_3) | instid1(SALU_CYCLE_1)
	v_readfirstlane_b32 s3, v2
	s_mul_f32 s2, s2, 0x4f7ffffe
	v_dual_mov_b32 v3, v6 :: v_dual_max_i32 v2, v0, v1
	s_mul_f32 s3, s3, 0x4f7ffffe
	s_cvt_u32_f32 s2, s2
	v_ashrrev_i32_e32 v1, 31, v0
	s_delay_alu instid0(SALU_CYCLE_1) | instskip(NEXT) | instid1(SALU_CYCLE_1)
	s_cvt_u32_f32 s3, s3
	s_mul_i32 s10, s10, s2
	s_delay_alu instid0(SALU_CYCLE_1) | instskip(NEXT) | instid1(SALU_CYCLE_1)
	s_mul_hi_u32 s10, s2, s10
	s_mul_i32 s12, s12, s3
	s_add_co_i32 s10, s2, s10
	s_mul_hi_u32 s2, s3, s12
	s_delay_alu instid0(SALU_CYCLE_1)
	s_add_co_i32 s12, s3, s2
	s_wait_kmcnt 0x0
	s_cmp_lt_i32 s16, 2
	s_cbranch_scc1 .LBB6_9
; %bb.2:
	s_add_co_i32 s2, s16, -1
	s_mov_b32 s3, 0
	v_mov_b64_e32 v[4:5], 0
	v_mov_b64_e32 v[8:9], v[0:1]
	s_lshl_b64 s[18:19], s[2:3], 3
	s_mov_b64 s[14:15], 0xffffffff
	s_add_nc_u64 s[18:19], s[8:9], s[18:19]
	s_add_co_i32 s25, s16, 1
	s_add_nc_u64 s[16:17], s[18:19], 8
.LBB6_3:                                ; =>This Inner Loop Header: Depth=1
	s_load_b64 s[18:19], s[16:17], 0x0
                                        ; implicit-def: $vgpr10_vgpr11
	s_mov_b32 s2, exec_lo
	s_wait_kmcnt 0x0
	s_delay_alu instid0(VALU_DEP_1) | instskip(NEXT) | instid1(VALU_DEP_1)
	v_or_b32_e32 v7, s19, v9
	v_cmpx_ne_u64_e32 0, v[6:7]
	s_xor_b32 s26, exec_lo, s2
	s_cbranch_execz .LBB6_5
; %bb.4:                                ;   in Loop: Header=BB6_3 Depth=1
	s_ashr_i32 s20, s19, 31
	v_dual_mov_b32 v15, v6 :: v_dual_ashrrev_i32 v10, 31, v9
	s_mov_b32 s21, s20
	v_mov_b32_e32 v23, v6
	s_add_nc_u64 s[22:23], s[18:19], s[20:21]
	s_delay_alu instid0(VALU_DEP_2) | instskip(SKIP_1) | instid1(SALU_CYCLE_1)
	v_mov_b32_e32 v11, v10
	s_xor_b64 s[22:23], s[22:23], s[20:21]
	s_cvt_f32_u32 s2, s22
	s_cvt_f32_u32 s21, s23
	s_sub_nc_u64 s[30:31], 0, s[22:23]
	v_add_nc_u64_e32 v[12:13], v[8:9], v[10:11]
	v_mov_b32_e32 v19, v6
	s_fmamk_f32 s2, s21, 0x4f800000, s2
	s_delay_alu instid0(SALU_CYCLE_3) | instskip(NEXT) | instid1(VALU_DEP_2)
	v_s_rcp_f32 s2, s2
	v_xor_b32_e32 v14, v12, v10
	s_delay_alu instid0(VALU_DEP_3) | instskip(NEXT) | instid1(TRANS32_DEP_1)
	v_xor_b32_e32 v18, v13, v10
	s_mul_f32 s2, s2, 0x5f7ffffc
	s_delay_alu instid0(SALU_CYCLE_3) | instskip(NEXT) | instid1(SALU_CYCLE_3)
	s_mul_f32 s21, s2, 0x2f800000
	s_trunc_f32 s21, s21
	s_delay_alu instid0(SALU_CYCLE_3) | instskip(SKIP_1) | instid1(SALU_CYCLE_2)
	s_fmamk_f32 s2, s21, 0xcf800000, s2
	s_cvt_u32_f32 s29, s21
	s_cvt_u32_f32 s28, s2
	s_delay_alu instid0(SALU_CYCLE_3) | instskip(NEXT) | instid1(SALU_CYCLE_1)
	s_mul_u64 s[34:35], s[30:31], s[28:29]
	s_mul_hi_u32 s37, s28, s35
	s_mul_i32 s36, s28, s35
	s_mul_hi_u32 s2, s28, s34
	s_mul_i32 s27, s29, s34
	s_add_nc_u64 s[36:37], s[2:3], s[36:37]
	s_mul_hi_u32 s21, s29, s34
	s_mul_hi_u32 s33, s29, s35
	s_add_co_u32 s2, s36, s27
	s_add_co_ci_u32 s2, s37, s21
	s_mul_i32 s34, s29, s35
	s_add_co_ci_u32 s35, s33, 0
	s_delay_alu instid0(SALU_CYCLE_1) | instskip(NEXT) | instid1(SALU_CYCLE_1)
	s_add_nc_u64 s[34:35], s[2:3], s[34:35]
	s_add_co_u32 s28, s28, s34
	s_cselect_b32 s2, -1, 0
	s_delay_alu instid0(SALU_CYCLE_1) | instskip(SKIP_1) | instid1(SALU_CYCLE_1)
	s_cmp_lg_u32 s2, 0
	s_add_co_ci_u32 s29, s29, s35
	s_mul_u64 s[30:31], s[30:31], s[28:29]
	s_delay_alu instid0(SALU_CYCLE_1)
	s_mul_hi_u32 s35, s28, s31
	s_mul_i32 s34, s28, s31
	s_mul_hi_u32 s2, s28, s30
	s_mul_i32 s27, s29, s30
	s_add_nc_u64 s[34:35], s[2:3], s[34:35]
	s_mul_hi_u32 s21, s29, s30
	s_mul_hi_u32 s33, s29, s31
	s_add_co_u32 s2, s34, s27
	s_add_co_ci_u32 s2, s35, s21
	s_mul_i32 s30, s29, s31
	s_add_co_ci_u32 s31, s33, 0
	s_delay_alu instid0(SALU_CYCLE_1) | instskip(NEXT) | instid1(SALU_CYCLE_1)
	s_add_nc_u64 s[30:31], s[2:3], s[30:31]
	s_add_co_u32 s28, s28, s30
	s_cselect_b32 s2, -1, 0
	v_mul_hi_u32 v22, v14, s28
	s_cmp_lg_u32 s2, 0
	s_add_co_ci_u32 s2, s29, s31
	s_and_b64 s[30:31], s[28:29], s[14:15]
	v_mul_u64_e32 v[16:17], s[2:3], v[14:15]
	v_mul_u64_e32 v[12:13], s[30:31], v[18:19]
	;; [unrolled: 1-line block ×3, first 2 shown]
	s_delay_alu instid0(VALU_DEP_3) | instskip(NEXT) | instid1(VALU_DEP_1)
	v_add_nc_u64_e32 v[16:17], v[22:23], v[16:17]
	v_add_co_u32 v7, vcc_lo, v16, v12
	s_delay_alu instid0(VALU_DEP_2) | instskip(NEXT) | instid1(VALU_DEP_4)
	v_add_co_ci_u32_e32 v22, vcc_lo, v17, v13, vcc_lo
	v_add_co_ci_u32_e32 v21, vcc_lo, 0, v21, vcc_lo
	s_delay_alu instid0(VALU_DEP_1) | instskip(NEXT) | instid1(VALU_DEP_1)
	v_add_nc_u64_e32 v[12:13], v[22:23], v[20:21]
	v_mul_u64_e32 v[16:17], s[22:23], v[12:13]
	s_delay_alu instid0(VALU_DEP_1) | instskip(NEXT) | instid1(VALU_DEP_2)
	v_sub_nc_u32_e32 v7, v18, v17
	v_sub_co_u32 v11, vcc_lo, v14, v16
	s_delay_alu instid0(VALU_DEP_1) | instskip(NEXT) | instid1(VALU_DEP_3)
	v_sub_co_ci_u32_e64 v18, null, v18, v17, vcc_lo
	v_subrev_co_ci_u32_e64 v7, null, s23, v7, vcc_lo
	s_delay_alu instid0(VALU_DEP_3) | instskip(SKIP_1) | instid1(VALU_DEP_3)
	v_sub_co_u32 v14, s2, v11, s22
	v_add_nc_u64_e32 v[16:17], 1, v[12:13]
	v_subrev_co_ci_u32_e64 v7, null, 0, v7, s2
	s_delay_alu instid0(VALU_DEP_3) | instskip(SKIP_1) | instid1(VALU_DEP_3)
	v_cmp_le_u32_e32 vcc_lo, s22, v14
	v_cndmask_b32_e64 v14, 0, -1, vcc_lo
	v_cmp_le_u32_e32 vcc_lo, s23, v7
	v_cndmask_b32_e64 v15, 0, -1, vcc_lo
	;; [unrolled: 2-line block ×4, first 2 shown]
	v_cmp_eq_u32_e32 vcc_lo, s23, v7
	v_cndmask_b32_e32 v7, v15, v14, vcc_lo
	v_cmp_eq_u32_e32 vcc_lo, s23, v18
	v_add_nc_u64_e32 v[14:15], 2, v[12:13]
	v_cndmask_b32_e32 v11, v19, v11, vcc_lo
	s_delay_alu instid0(VALU_DEP_4) | instskip(NEXT) | instid1(VALU_DEP_2)
	v_cmp_ne_u32_e32 vcc_lo, 0, v7
	v_cmp_ne_u32_e64 s2, 0, v11
	s_delay_alu instid0(VALU_DEP_4) | instskip(NEXT) | instid1(VALU_DEP_1)
	v_dual_cndmask_b32 v7, v17, v15, vcc_lo :: v_dual_cndmask_b32 v11, v16, v14, vcc_lo
	v_dual_cndmask_b32 v7, v13, v7, s2 :: v_dual_bitop2_b32 v10, s20, v10 bitop3:0x14
	s_delay_alu instid0(VALU_DEP_1) | instskip(NEXT) | instid1(VALU_DEP_2)
	v_dual_cndmask_b32 v12, v12, v11, s2 :: v_dual_mov_b32 v11, v10
	v_xor_b32_e32 v13, v7, v10
	s_delay_alu instid0(VALU_DEP_2) | instskip(NEXT) | instid1(VALU_DEP_1)
	v_xor_b32_e32 v12, v12, v10
	v_sub_nc_u64_e32 v[10:11], v[12:13], v[10:11]
.LBB6_5:                                ;   in Loop: Header=BB6_3 Depth=1
	s_and_not1_saveexec_b32 s2, s26
	s_cbranch_execz .LBB6_7
; %bb.6:                                ;   in Loop: Header=BB6_3 Depth=1
	v_cvt_f32_u32_e32 v7, s18
	s_sub_co_i32 s20, 0, s18
	s_delay_alu instid0(VALU_DEP_1) | instskip(SKIP_1) | instid1(TRANS32_DEP_1)
	v_rcp_iflag_f32_e32 v7, v7
	v_nop
	v_mul_f32_e32 v7, 0x4f7ffffe, v7
	s_delay_alu instid0(VALU_DEP_1) | instskip(NEXT) | instid1(VALU_DEP_1)
	v_cvt_u32_f32_e32 v7, v7
	v_mul_lo_u32 v10, s20, v7
	s_delay_alu instid0(VALU_DEP_1) | instskip(NEXT) | instid1(VALU_DEP_1)
	v_mul_hi_u32 v10, v7, v10
	v_add_nc_u32_e32 v7, v7, v10
	s_delay_alu instid0(VALU_DEP_1) | instskip(NEXT) | instid1(VALU_DEP_1)
	v_mul_hi_u32 v7, v8, v7
	v_mul_lo_u32 v10, v7, s18
	s_delay_alu instid0(VALU_DEP_1) | instskip(NEXT) | instid1(VALU_DEP_1)
	v_dual_add_nc_u32 v11, 1, v7 :: v_dual_sub_nc_u32 v10, v8, v10
	v_subrev_nc_u32_e32 v12, s18, v10
	v_cmp_le_u32_e32 vcc_lo, s18, v10
	s_delay_alu instid0(VALU_DEP_2) | instskip(NEXT) | instid1(VALU_DEP_1)
	v_dual_cndmask_b32 v10, v10, v12 :: v_dual_cndmask_b32 v7, v7, v11
	v_cmp_le_u32_e32 vcc_lo, s18, v10
	s_delay_alu instid0(VALU_DEP_2) | instskip(NEXT) | instid1(VALU_DEP_1)
	v_add_nc_u32_e32 v11, 1, v7
	v_dual_cndmask_b32 v10, v7, v11 :: v_dual_mov_b32 v11, v6
.LBB6_7:                                ;   in Loop: Header=BB6_3 Depth=1
	s_or_b32 exec_lo, exec_lo, s2
	s_delay_alu instid0(VALU_DEP_1)
	v_mul_u64_e32 v[12:13], s[18:19], v[10:11]
	s_load_b64 s[18:19], s[16:17], 0xc8
	s_add_co_i32 s25, s25, -1
	s_wait_xcnt 0x0
	s_add_nc_u64 s[16:17], s[16:17], -8
	s_cmp_gt_u32 s25, 2
	s_delay_alu instid0(VALU_DEP_1) | instskip(SKIP_1) | instid1(VALU_DEP_1)
	v_sub_nc_u64_e32 v[8:9], v[8:9], v[12:13]
	s_wait_kmcnt 0x0
	v_mad_nc_u64_u32 v[4:5], s18, v8, v[4:5]
	s_delay_alu instid0(VALU_DEP_1) | instskip(NEXT) | instid1(VALU_DEP_1)
	v_mad_u32 v5, s19, v8, v5
	v_mad_u32 v5, s18, v9, v5
	s_cbranch_scc0 .LBB6_10
; %bb.8:                                ;   in Loop: Header=BB6_3 Depth=1
	v_mov_b64_e32 v[8:9], v[10:11]
	s_branch .LBB6_3
.LBB6_9:
	v_mov_b64_e32 v[10:11], v[0:1]
.LBB6_10:
	v_mul_u64_e32 v[6:7], s[12:13], v[2:3]
	v_mul_u64_e32 v[8:9], s[10:11], v[2:3]
	s_clause 0x2
	s_load_b64 s[10:11], s[0:1], 0x1a8
	s_load_b32 s3, s[8:9], 0xd0
	s_load_b64 s[12:13], s[8:9], 0x0
	s_ashr_i32 s2, s24, 31
	s_wait_xcnt 0x0
	s_load_b64 s[0:1], s[0:1], 0x0
	s_wait_kmcnt 0x0
	v_mad_u32 v5, s3, v10, v4
	s_ashr_i32 s3, s5, 31
	s_delay_alu instid0(VALU_DEP_3) | instskip(SKIP_1) | instid1(VALU_DEP_4)
	v_mul_lo_u32 v3, v7, s4
	v_mov_b32_e32 v4, 0
	v_mul_lo_u32 v6, v9, s7
	s_delay_alu instid0(VALU_DEP_3) | instskip(NEXT) | instid1(VALU_DEP_3)
	v_sub_nc_u32_e32 v3, v2, v3
	v_ashrrev_i64 v[10:11], 29, v[4:5]
	s_delay_alu instid0(VALU_DEP_3) | instskip(NEXT) | instid1(VALU_DEP_3)
	v_sub_nc_u32_e32 v6, v2, v6
	v_subrev_nc_u32_e32 v8, s4, v3
	v_cmp_le_u32_e32 vcc_lo, s4, v3
	v_add_nc_u32_e32 v5, 1, v7
	v_add_nc_u64_e32 v[10:11], s[12:13], v[10:11]
	s_delay_alu instid0(VALU_DEP_4) | instskip(NEXT) | instid1(VALU_DEP_3)
	v_cndmask_b32_e32 v3, v3, v8, vcc_lo
	v_cndmask_b32_e32 v5, v7, v5, vcc_lo
	global_load_b64 v[10:11], v[10:11], off
	v_cmp_le_u32_e32 vcc_lo, s4, v3
	v_xor_b32_e32 v8, s2, v1
	v_add_nc_u32_e32 v7, 1, v5
	s_mov_b32 s2, s5
	s_delay_alu instid0(VALU_DEP_1) | instskip(SKIP_2) | instid1(VALU_DEP_2)
	v_cndmask_b32_e32 v5, v5, v7, vcc_lo
	v_subrev_nc_u32_e32 v7, s7, v6
	v_cmp_le_u32_e32 vcc_lo, s7, v6
	v_dual_cndmask_b32 v7, v6, v7, vcc_lo :: v_dual_bitop2_b32 v5, v5, v8 bitop3:0x14
	s_delay_alu instid0(VALU_DEP_1) | instskip(NEXT) | instid1(VALU_DEP_2)
	v_sub_nc_u32_e32 v5, v5, v8
	v_subrev_nc_u32_e32 v8, s7, v7
	v_cmp_le_u32_e32 vcc_lo, s7, v7
	s_wait_loadcnt 0x0
	v_mul_u64_e32 v[2:3], s[2:3], v[10:11]
	s_mul_i32 s2, s6, s5
	s_delay_alu instid0(SALU_CYCLE_1) | instskip(NEXT) | instid1(VALU_DEP_1)
	v_mul_lo_u32 v6, s2, v5
	v_dual_cndmask_b32 v5, v7, v8, vcc_lo :: v_dual_ashrrev_i32 v7, 31, v6
	s_delay_alu instid0(VALU_DEP_1) | instskip(NEXT) | instid1(VALU_DEP_2)
	v_xor_b32_e32 v5, v5, v1
	v_lshl_add_u64 v[6:7], v[6:7], 3, s[10:11]
	s_delay_alu instid0(VALU_DEP_2) | instskip(SKIP_2) | instid1(VALU_DEP_2)
	v_sub_nc_u32_e32 v8, v5, v1
	v_lshl_add_u64 v[0:1], v[0:1], 3, s[0:1]
	s_mov_b32 s1, 0
	v_ashrrev_i32_e32 v9, 31, v8
	v_lshl_add_u64 v[2:3], v[2:3], 3, v[6:7]
	s_delay_alu instid0(VALU_DEP_1)
	v_lshl_add_u64 v[6:7], v[8:9], 3, v[2:3]
	global_load_b64 v[8:9], v[0:1], off
	global_load_b64 v[2:3], v[6:7], off scope:SCOPE_SYS
	s_wait_loadcnt 0x1
	v_ashrrev_i32_e32 v10, 31, v9
	s_branch .LBB6_12
.LBB6_11:                               ;   in Loop: Header=BB6_12 Depth=1
	s_or_b32 exec_lo, exec_lo, s0
	global_atomic_cmpswap_b64 v[0:1], v[6:7], v[0:3], off th:TH_ATOMIC_RETURN scope:SCOPE_DEV
	s_wait_loadcnt 0x0
	v_cmp_eq_u64_e32 vcc_lo, v[2:3], v[0:1]
	v_mov_b64_e32 v[2:3], v[0:1]
	s_or_b32 s1, vcc_lo, s1
	s_delay_alu instid0(SALU_CYCLE_1)
	s_and_not1_b32 exec_lo, exec_lo, s1
	s_cbranch_execz .LBB6_16
.LBB6_12:                               ; =>This Inner Loop Header: Depth=1
	s_wait_loadcnt 0x0
	s_delay_alu instid0(VALU_DEP_1) | instskip(SKIP_1) | instid1(VALU_DEP_1)
	v_or_b32_e32 v5, v3, v9
	s_mov_b32 s0, exec_lo
	v_cmpx_ne_u64_e32 0, v[4:5]
	s_xor_b32 s2, exec_lo, s0
	s_cbranch_execz .LBB6_14
; %bb.13:                               ;   in Loop: Header=BB6_12 Depth=1
	v_dual_mov_b32 v11, v10 :: v_dual_mov_b32 v13, v4
	v_dual_mov_b32 v21, v4 :: v_dual_mov_b32 v23, v4
	s_delay_alu instid0(VALU_DEP_2) | instskip(NEXT) | instid1(VALU_DEP_1)
	v_add_nc_u64_e32 v[0:1], v[8:9], v[10:11]
	v_xor_b32_e32 v0, v0, v10
	s_delay_alu instid0(VALU_DEP_2) | instskip(NEXT) | instid1(VALU_DEP_2)
	v_xor_b32_e32 v1, v1, v10
	v_cvt_f32_u32_e32 v5, v0
	s_delay_alu instid0(VALU_DEP_2) | instskip(NEXT) | instid1(VALU_DEP_1)
	v_cvt_f32_u32_e32 v11, v1
	v_fmac_f32_e32 v5, 0x4f800000, v11
	s_delay_alu instid0(VALU_DEP_1) | instskip(SKIP_1) | instid1(TRANS32_DEP_1)
	v_rcp_f32_e32 v5, v5
	v_nop
	v_mul_f32_e32 v5, 0x5f7ffffc, v5
	s_delay_alu instid0(VALU_DEP_1) | instskip(NEXT) | instid1(VALU_DEP_1)
	v_mul_f32_e32 v11, 0x2f800000, v5
	v_trunc_f32_e32 v11, v11
	s_delay_alu instid0(VALU_DEP_1) | instskip(NEXT) | instid1(VALU_DEP_1)
	v_cvt_u32_f32_e32 v17, v11
	v_dual_mov_b32 v22, v17 :: v_dual_fmac_f32 v5, 0xcf800000, v11
	s_delay_alu instid0(VALU_DEP_1) | instskip(NEXT) | instid1(VALU_DEP_1)
	v_cvt_u32_f32_e32 v12, v5
	v_mov_b32_e32 v16, v12
	v_sub_nc_u64_e32 v[14:15], 0, v[0:1]
	s_delay_alu instid0(VALU_DEP_1) | instskip(NEXT) | instid1(VALU_DEP_1)
	v_mul_u64_e32 v[18:19], v[14:15], v[16:17]
	v_dual_mov_b32 v20, v19 :: v_dual_mov_b32 v19, v4
	s_delay_alu instid0(VALU_DEP_1) | instskip(NEXT) | instid1(VALU_DEP_2)
	v_mul_u64_e32 v[24:25], v[12:13], v[20:21]
	v_mul_u64_e32 v[26:27], v[22:23], v[18:19]
	;; [unrolled: 1-line block ×3, first 2 shown]
	v_mul_hi_u32 v18, v12, v18
	s_delay_alu instid0(VALU_DEP_1) | instskip(SKIP_1) | instid1(VALU_DEP_1)
	v_add_nc_u64_e32 v[18:19], v[18:19], v[24:25]
	v_ashrrev_i32_e32 v24, 31, v3
	v_mov_b32_e32 v25, v24
	s_delay_alu instid0(VALU_DEP_3) | instskip(NEXT) | instid1(VALU_DEP_4)
	v_add_co_u32 v5, vcc_lo, v18, v26
	v_add_co_ci_u32_e32 v22, vcc_lo, v19, v27, vcc_lo
	v_add_co_ci_u32_e32 v21, vcc_lo, 0, v21, vcc_lo
	s_delay_alu instid0(VALU_DEP_1) | instskip(NEXT) | instid1(VALU_DEP_1)
	v_add_nc_u64_e32 v[18:19], v[22:23], v[20:21]
	v_add_co_u32 v12, vcc_lo, v12, v18
	s_delay_alu instid0(VALU_DEP_1) | instskip(SKIP_1) | instid1(VALU_DEP_2)
	v_add_co_ci_u32_e64 v16, null, v17, v19, vcc_lo
	v_dual_mov_b32 v19, v4 :: v_dual_mov_b32 v17, v4
	v_mov_b32_e32 v13, v16
	s_delay_alu instid0(VALU_DEP_1) | instskip(NEXT) | instid1(VALU_DEP_1)
	v_mul_u64_e32 v[14:15], v[14:15], v[12:13]
	v_dual_mov_b32 v13, v4 :: v_dual_mov_b32 v18, v15
	s_delay_alu instid0(VALU_DEP_2) | instskip(SKIP_2) | instid1(VALU_DEP_4)
	v_mov_b32_e32 v22, v14
	v_mul_hi_u32 v14, v12, v14
	v_mov_b32_e32 v15, v4
	v_mul_u64_e32 v[20:21], v[12:13], v[18:19]
	s_delay_alu instid0(VALU_DEP_4) | instskip(SKIP_1) | instid1(VALU_DEP_3)
	v_mul_u64_e32 v[22:23], v[16:17], v[22:23]
	v_mul_u64_e32 v[18:19], v[16:17], v[18:19]
	v_add_nc_u64_e32 v[14:15], v[14:15], v[20:21]
	v_mov_b32_e32 v21, v4
	s_delay_alu instid0(VALU_DEP_2) | instskip(NEXT) | instid1(VALU_DEP_3)
	v_add_co_u32 v5, vcc_lo, v14, v22
	v_add_co_ci_u32_e32 v20, vcc_lo, v15, v23, vcc_lo
	v_add_co_ci_u32_e32 v19, vcc_lo, 0, v19, vcc_lo
	v_add_nc_u64_e32 v[14:15], v[2:3], v[24:25]
	s_delay_alu instid0(VALU_DEP_2) | instskip(NEXT) | instid1(VALU_DEP_2)
	v_add_nc_u64_e32 v[18:19], v[20:21], v[18:19]
	v_xor_b32_e32 v20, v14, v24
	s_delay_alu instid0(VALU_DEP_2) | instskip(NEXT) | instid1(VALU_DEP_1)
	v_add_co_u32 v18, vcc_lo, v12, v18
	v_add_co_ci_u32_e64 v12, null, v16, v19, vcc_lo
	v_dual_mov_b32 v19, v4 :: v_dual_bitop2_b32 v16, v15, v24 bitop3:0x14
	s_delay_alu instid0(VALU_DEP_2) | instskip(NEXT) | instid1(VALU_DEP_2)
	v_mul_u64_e32 v[22:23], v[20:21], v[12:13]
	v_mul_u64_e32 v[14:15], v[16:17], v[18:19]
	v_mul_hi_u32 v18, v20, v18
	s_delay_alu instid0(VALU_DEP_1) | instskip(SKIP_2) | instid1(VALU_DEP_3)
	v_add_nc_u64_e32 v[18:19], v[18:19], v[22:23]
	v_mov_b32_e32 v23, v4
	v_mul_u64_e32 v[12:13], v[16:17], v[12:13]
	v_add_co_u32 v5, vcc_lo, v18, v14
	s_delay_alu instid0(VALU_DEP_4) | instskip(NEXT) | instid1(VALU_DEP_3)
	v_add_co_ci_u32_e32 v22, vcc_lo, v19, v15, vcc_lo
	v_add_co_ci_u32_e32 v13, vcc_lo, 0, v13, vcc_lo
	s_delay_alu instid0(VALU_DEP_1) | instskip(NEXT) | instid1(VALU_DEP_1)
	v_add_nc_u64_e32 v[12:13], v[22:23], v[12:13]
	v_mul_u64_e32 v[14:15], v[0:1], v[12:13]
	s_delay_alu instid0(VALU_DEP_1) | instskip(NEXT) | instid1(VALU_DEP_2)
	v_sub_nc_u32_e32 v5, v16, v15
	v_sub_co_u32 v11, vcc_lo, v20, v14
	s_delay_alu instid0(VALU_DEP_1) | instskip(NEXT) | instid1(VALU_DEP_3)
	v_sub_co_ci_u32_e64 v18, null, v16, v15, vcc_lo
	v_sub_co_ci_u32_e64 v5, null, v5, v1, vcc_lo
	s_delay_alu instid0(VALU_DEP_3) | instskip(SKIP_1) | instid1(VALU_DEP_3)
	v_sub_co_u32 v14, s0, v11, v0
	v_add_nc_u64_e32 v[16:17], 1, v[12:13]
	v_subrev_co_ci_u32_e64 v5, null, 0, v5, s0
	s_delay_alu instid0(VALU_DEP_3) | instskip(SKIP_1) | instid1(VALU_DEP_3)
	v_cmp_ge_u32_e32 vcc_lo, v14, v0
	v_cndmask_b32_e64 v14, 0, -1, vcc_lo
	v_cmp_ge_u32_e32 vcc_lo, v5, v1
	v_cndmask_b32_e64 v15, 0, -1, vcc_lo
	;; [unrolled: 2-line block ×4, first 2 shown]
	v_cmp_eq_u32_e32 vcc_lo, v5, v1
	v_cndmask_b32_e32 v5, v15, v14, vcc_lo
	v_cmp_eq_u32_e32 vcc_lo, v18, v1
	v_add_nc_u64_e32 v[14:15], 2, v[12:13]
	v_cndmask_b32_e32 v0, v11, v0, vcc_lo
	s_delay_alu instid0(VALU_DEP_4) | instskip(NEXT) | instid1(VALU_DEP_2)
	v_cmp_ne_u32_e32 vcc_lo, 0, v5
	v_cmp_ne_u32_e64 s0, 0, v0
	s_delay_alu instid0(VALU_DEP_4) | instskip(NEXT) | instid1(VALU_DEP_1)
	v_dual_cndmask_b32 v1, v17, v15, vcc_lo :: v_dual_cndmask_b32 v5, v16, v14, vcc_lo
	v_dual_cndmask_b32 v11, v13, v1, s0 :: v_dual_bitop2_b32 v0, v24, v10 bitop3:0x14
	s_delay_alu instid0(VALU_DEP_1) | instskip(NEXT) | instid1(VALU_DEP_1)
	v_dual_cndmask_b32 v5, v12, v5, s0 :: v_dual_bitop2_b32 v13, v11, v0 bitop3:0x14
	v_dual_mov_b32 v1, v0 :: v_dual_bitop2_b32 v12, v5, v0 bitop3:0x14
	s_delay_alu instid0(VALU_DEP_1)
	v_sub_nc_u64_e32 v[0:1], v[12:13], v[0:1]
.LBB6_14:                               ;   in Loop: Header=BB6_12 Depth=1
	s_and_not1_saveexec_b32 s0, s2
	s_cbranch_execz .LBB6_11
; %bb.15:                               ;   in Loop: Header=BB6_12 Depth=1
	v_cvt_f32_u32_e32 v0, v8
	v_sub_nc_u32_e32 v1, 0, v8
	s_delay_alu instid0(VALU_DEP_2) | instskip(SKIP_1) | instid1(TRANS32_DEP_1)
	v_rcp_iflag_f32_e32 v0, v0
	v_nop
	v_mul_f32_e32 v0, 0x4f7ffffe, v0
	s_delay_alu instid0(VALU_DEP_1) | instskip(NEXT) | instid1(VALU_DEP_1)
	v_cvt_u32_f32_e32 v0, v0
	v_mul_lo_u32 v1, v1, v0
	s_delay_alu instid0(VALU_DEP_1) | instskip(NEXT) | instid1(VALU_DEP_1)
	v_mul_hi_u32 v1, v0, v1
	v_add_nc_u32_e32 v0, v0, v1
	s_delay_alu instid0(VALU_DEP_1) | instskip(NEXT) | instid1(VALU_DEP_1)
	v_mul_hi_u32 v0, v2, v0
	v_mul_lo_u32 v1, v0, v8
	s_delay_alu instid0(VALU_DEP_1) | instskip(NEXT) | instid1(VALU_DEP_1)
	v_sub_nc_u32_e32 v1, v2, v1
	v_sub_nc_u32_e32 v11, v1, v8
	v_cmp_ge_u32_e32 vcc_lo, v1, v8
	s_delay_alu instid0(VALU_DEP_2) | instskip(NEXT) | instid1(VALU_DEP_1)
	v_dual_add_nc_u32 v5, 1, v0 :: v_dual_cndmask_b32 v1, v1, v11, vcc_lo
	v_cndmask_b32_e32 v0, v0, v5, vcc_lo
	s_delay_alu instid0(VALU_DEP_2) | instskip(NEXT) | instid1(VALU_DEP_2)
	v_cmp_ge_u32_e32 vcc_lo, v1, v8
	v_dual_add_nc_u32 v5, 1, v0 :: v_dual_mov_b32 v1, v4
	s_delay_alu instid0(VALU_DEP_1)
	v_cndmask_b32_e32 v0, v0, v5, vcc_lo
	s_branch .LBB6_11
.LBB6_16:
	s_endpgm
	.section	.rodata,"a",@progbits
	.p2align	6, 0x0
	.amdhsa_kernel _Z14scatter_kernelIlL13ReductionType2EEvPKT_10TensorInfoIllEPS1_iiii
		.amdhsa_group_segment_fixed_size 0
		.amdhsa_private_segment_fixed_size 0
		.amdhsa_kernarg_size 704
		.amdhsa_user_sgpr_count 2
		.amdhsa_user_sgpr_dispatch_ptr 0
		.amdhsa_user_sgpr_queue_ptr 0
		.amdhsa_user_sgpr_kernarg_segment_ptr 1
		.amdhsa_user_sgpr_dispatch_id 0
		.amdhsa_user_sgpr_kernarg_preload_length 0
		.amdhsa_user_sgpr_kernarg_preload_offset 0
		.amdhsa_user_sgpr_private_segment_size 0
		.amdhsa_wavefront_size32 1
		.amdhsa_uses_dynamic_stack 0
		.amdhsa_enable_private_segment 0
		.amdhsa_system_sgpr_workgroup_id_x 1
		.amdhsa_system_sgpr_workgroup_id_y 0
		.amdhsa_system_sgpr_workgroup_id_z 0
		.amdhsa_system_sgpr_workgroup_info 0
		.amdhsa_system_vgpr_workitem_id 0
		.amdhsa_next_free_vgpr 28
		.amdhsa_next_free_sgpr 38
		.amdhsa_named_barrier_count 0
		.amdhsa_reserve_vcc 1
		.amdhsa_float_round_mode_32 0
		.amdhsa_float_round_mode_16_64 0
		.amdhsa_float_denorm_mode_32 3
		.amdhsa_float_denorm_mode_16_64 3
		.amdhsa_fp16_overflow 0
		.amdhsa_memory_ordered 1
		.amdhsa_forward_progress 1
		.amdhsa_inst_pref_size 19
		.amdhsa_round_robin_scheduling 0
		.amdhsa_exception_fp_ieee_invalid_op 0
		.amdhsa_exception_fp_denorm_src 0
		.amdhsa_exception_fp_ieee_div_zero 0
		.amdhsa_exception_fp_ieee_overflow 0
		.amdhsa_exception_fp_ieee_underflow 0
		.amdhsa_exception_fp_ieee_inexact 0
		.amdhsa_exception_int_div_zero 0
	.end_amdhsa_kernel
	.section	.text._Z14scatter_kernelIlL13ReductionType2EEvPKT_10TensorInfoIllEPS1_iiii,"axG",@progbits,_Z14scatter_kernelIlL13ReductionType2EEvPKT_10TensorInfoIllEPS1_iiii,comdat
.Lfunc_end6:
	.size	_Z14scatter_kernelIlL13ReductionType2EEvPKT_10TensorInfoIllEPS1_iiii, .Lfunc_end6-_Z14scatter_kernelIlL13ReductionType2EEvPKT_10TensorInfoIllEPS1_iiii
                                        ; -- End function
	.set _Z14scatter_kernelIlL13ReductionType2EEvPKT_10TensorInfoIllEPS1_iiii.num_vgpr, 28
	.set _Z14scatter_kernelIlL13ReductionType2EEvPKT_10TensorInfoIllEPS1_iiii.num_agpr, 0
	.set _Z14scatter_kernelIlL13ReductionType2EEvPKT_10TensorInfoIllEPS1_iiii.numbered_sgpr, 38
	.set _Z14scatter_kernelIlL13ReductionType2EEvPKT_10TensorInfoIllEPS1_iiii.num_named_barrier, 0
	.set _Z14scatter_kernelIlL13ReductionType2EEvPKT_10TensorInfoIllEPS1_iiii.private_seg_size, 0
	.set _Z14scatter_kernelIlL13ReductionType2EEvPKT_10TensorInfoIllEPS1_iiii.uses_vcc, 1
	.set _Z14scatter_kernelIlL13ReductionType2EEvPKT_10TensorInfoIllEPS1_iiii.uses_flat_scratch, 0
	.set _Z14scatter_kernelIlL13ReductionType2EEvPKT_10TensorInfoIllEPS1_iiii.has_dyn_sized_stack, 0
	.set _Z14scatter_kernelIlL13ReductionType2EEvPKT_10TensorInfoIllEPS1_iiii.has_recursion, 0
	.set _Z14scatter_kernelIlL13ReductionType2EEvPKT_10TensorInfoIllEPS1_iiii.has_indirect_call, 0
	.section	.AMDGPU.csdata,"",@progbits
; Kernel info:
; codeLenInByte = 2376
; TotalNumSgprs: 40
; NumVgprs: 28
; ScratchSize: 0
; MemoryBound: 0
; FloatMode: 240
; IeeeMode: 1
; LDSByteSize: 0 bytes/workgroup (compile time only)
; SGPRBlocks: 0
; VGPRBlocks: 1
; NumSGPRsForWavesPerEU: 40
; NumVGPRsForWavesPerEU: 28
; NamedBarCnt: 0
; Occupancy: 16
; WaveLimiterHint : 1
; COMPUTE_PGM_RSRC2:SCRATCH_EN: 0
; COMPUTE_PGM_RSRC2:USER_SGPR: 2
; COMPUTE_PGM_RSRC2:TRAP_HANDLER: 0
; COMPUTE_PGM_RSRC2:TGID_X_EN: 1
; COMPUTE_PGM_RSRC2:TGID_Y_EN: 0
; COMPUTE_PGM_RSRC2:TGID_Z_EN: 0
; COMPUTE_PGM_RSRC2:TIDIG_COMP_CNT: 0
	.section	.text._Z14scatter_kernelIlL13ReductionType0EEvPKT_10TensorInfoIllEPS1_iiii,"axG",@progbits,_Z14scatter_kernelIlL13ReductionType0EEvPKT_10TensorInfoIllEPS1_iiii,comdat
	.protected	_Z14scatter_kernelIlL13ReductionType0EEvPKT_10TensorInfoIllEPS1_iiii ; -- Begin function _Z14scatter_kernelIlL13ReductionType0EEvPKT_10TensorInfoIllEPS1_iiii
	.globl	_Z14scatter_kernelIlL13ReductionType0EEvPKT_10TensorInfoIllEPS1_iiii
	.p2align	8
	.type	_Z14scatter_kernelIlL13ReductionType0EEvPKT_10TensorInfoIllEPS1_iiii,@function
_Z14scatter_kernelIlL13ReductionType0EEvPKT_10TensorInfoIllEPS1_iiii: ; @_Z14scatter_kernelIlL13ReductionType0EEvPKT_10TensorInfoIllEPS1_iiii
; %bb.0:
	s_clause 0x1
	s_load_b32 s2, s[0:1], 0x1cc
	s_load_b128 s[4:7], s[0:1], 0x1b0
	s_bfe_u32 s3, ttmp6, 0x4000c
	s_and_b32 s8, ttmp6, 15
	s_add_co_i32 s3, s3, 1
	s_getreg_b32 s9, hwreg(HW_REG_IB_STS2, 6, 4)
	s_mul_i32 s3, ttmp9, s3
	s_mov_b32 s11, 0
	s_add_co_i32 s8, s8, s3
	s_wait_kmcnt 0x0
	s_and_b32 s2, s2, 0xffff
	s_cmp_eq_u32 s9, 0
	s_cselect_b32 s3, ttmp9, s8
	s_delay_alu instid0(SALU_CYCLE_1) | instskip(SKIP_1) | instid1(VALU_DEP_1)
	v_mad_u32 v0, s3, s2, v0
	s_mov_b32 s2, exec_lo
	v_cmpx_gt_i32_e64 s7, v0
	s_cbranch_execz .LBB7_12
; %bb.1:
	s_abs_i32 s7, s5
	s_mul_i32 s24, s5, s4
	s_cvt_f32_u32 s2, s7
	s_abs_i32 s4, s24
	s_load_b32 s16, s[0:1], 0x1a0
	s_cvt_f32_u32 s3, s4
	v_rcp_iflag_f32_e32 v1, s2
	s_sub_co_i32 s10, 0, s7
	s_sub_co_i32 s12, 0, s4
	v_rcp_iflag_f32_e32 v2, s3
	v_mov_b64_e32 v[4:5], 0
	s_add_nc_u64 s[8:9], s[0:1], 8
	s_mov_b32 s13, s11
	v_readfirstlane_b32 s2, v1
	v_dual_mov_b32 v6, 0 :: v_dual_sub_nc_u32 v1, 0, v0
	s_delay_alu instid0(TRANS32_DEP_1) | instskip(SKIP_3) | instid1(SALU_CYCLE_1)
	v_readfirstlane_b32 s3, v2
	s_mul_f32 s2, s2, 0x4f7ffffe
	v_dual_mov_b32 v3, v6 :: v_dual_max_i32 v2, v0, v1
	s_mul_f32 s3, s3, 0x4f7ffffe
	s_cvt_u32_f32 s2, s2
	v_ashrrev_i32_e32 v1, 31, v0
	s_delay_alu instid0(SALU_CYCLE_1) | instskip(NEXT) | instid1(SALU_CYCLE_1)
	s_cvt_u32_f32 s3, s3
	s_mul_i32 s10, s10, s2
	s_delay_alu instid0(SALU_CYCLE_1) | instskip(NEXT) | instid1(SALU_CYCLE_1)
	s_mul_hi_u32 s10, s2, s10
	s_mul_i32 s12, s12, s3
	s_add_co_i32 s10, s2, s10
	s_mul_hi_u32 s2, s3, s12
	s_delay_alu instid0(SALU_CYCLE_1)
	s_add_co_i32 s12, s3, s2
	s_wait_kmcnt 0x0
	s_cmp_lt_i32 s16, 2
	s_cbranch_scc1 .LBB7_9
; %bb.2:
	s_add_co_i32 s2, s16, -1
	s_mov_b32 s3, 0
	v_mov_b64_e32 v[4:5], 0
	v_mov_b64_e32 v[8:9], v[0:1]
	s_lshl_b64 s[18:19], s[2:3], 3
	s_mov_b64 s[14:15], 0xffffffff
	s_add_nc_u64 s[18:19], s[8:9], s[18:19]
	s_add_co_i32 s25, s16, 1
	s_add_nc_u64 s[16:17], s[18:19], 8
.LBB7_3:                                ; =>This Inner Loop Header: Depth=1
	s_load_b64 s[18:19], s[16:17], 0x0
                                        ; implicit-def: $vgpr10_vgpr11
	s_mov_b32 s2, exec_lo
	s_wait_kmcnt 0x0
	s_delay_alu instid0(VALU_DEP_1) | instskip(NEXT) | instid1(VALU_DEP_1)
	v_or_b32_e32 v7, s19, v9
	v_cmpx_ne_u64_e32 0, v[6:7]
	s_xor_b32 s26, exec_lo, s2
	s_cbranch_execz .LBB7_5
; %bb.4:                                ;   in Loop: Header=BB7_3 Depth=1
	s_ashr_i32 s20, s19, 31
	v_dual_mov_b32 v15, v6 :: v_dual_ashrrev_i32 v10, 31, v9
	s_mov_b32 s21, s20
	v_mov_b32_e32 v23, v6
	s_add_nc_u64 s[22:23], s[18:19], s[20:21]
	s_delay_alu instid0(VALU_DEP_2) | instskip(SKIP_1) | instid1(SALU_CYCLE_1)
	v_mov_b32_e32 v11, v10
	s_xor_b64 s[22:23], s[22:23], s[20:21]
	s_cvt_f32_u32 s2, s22
	s_cvt_f32_u32 s21, s23
	s_sub_nc_u64 s[30:31], 0, s[22:23]
	v_add_nc_u64_e32 v[12:13], v[8:9], v[10:11]
	v_mov_b32_e32 v19, v6
	s_fmamk_f32 s2, s21, 0x4f800000, s2
	s_delay_alu instid0(SALU_CYCLE_3) | instskip(NEXT) | instid1(VALU_DEP_2)
	v_s_rcp_f32 s2, s2
	v_xor_b32_e32 v14, v12, v10
	s_delay_alu instid0(VALU_DEP_3) | instskip(NEXT) | instid1(TRANS32_DEP_1)
	v_xor_b32_e32 v18, v13, v10
	s_mul_f32 s2, s2, 0x5f7ffffc
	s_delay_alu instid0(SALU_CYCLE_3) | instskip(NEXT) | instid1(SALU_CYCLE_3)
	s_mul_f32 s21, s2, 0x2f800000
	s_trunc_f32 s21, s21
	s_delay_alu instid0(SALU_CYCLE_3) | instskip(SKIP_1) | instid1(SALU_CYCLE_2)
	s_fmamk_f32 s2, s21, 0xcf800000, s2
	s_cvt_u32_f32 s29, s21
	s_cvt_u32_f32 s28, s2
	s_delay_alu instid0(SALU_CYCLE_3) | instskip(NEXT) | instid1(SALU_CYCLE_1)
	s_mul_u64 s[34:35], s[30:31], s[28:29]
	s_mul_hi_u32 s37, s28, s35
	s_mul_i32 s36, s28, s35
	s_mul_hi_u32 s2, s28, s34
	s_mul_i32 s27, s29, s34
	s_add_nc_u64 s[36:37], s[2:3], s[36:37]
	s_mul_hi_u32 s21, s29, s34
	s_mul_hi_u32 s33, s29, s35
	s_add_co_u32 s2, s36, s27
	s_add_co_ci_u32 s2, s37, s21
	s_mul_i32 s34, s29, s35
	s_add_co_ci_u32 s35, s33, 0
	s_delay_alu instid0(SALU_CYCLE_1) | instskip(NEXT) | instid1(SALU_CYCLE_1)
	s_add_nc_u64 s[34:35], s[2:3], s[34:35]
	s_add_co_u32 s28, s28, s34
	s_cselect_b32 s2, -1, 0
	s_delay_alu instid0(SALU_CYCLE_1) | instskip(SKIP_1) | instid1(SALU_CYCLE_1)
	s_cmp_lg_u32 s2, 0
	s_add_co_ci_u32 s29, s29, s35
	s_mul_u64 s[30:31], s[30:31], s[28:29]
	s_delay_alu instid0(SALU_CYCLE_1)
	s_mul_hi_u32 s35, s28, s31
	s_mul_i32 s34, s28, s31
	s_mul_hi_u32 s2, s28, s30
	s_mul_i32 s27, s29, s30
	s_add_nc_u64 s[34:35], s[2:3], s[34:35]
	s_mul_hi_u32 s21, s29, s30
	s_mul_hi_u32 s33, s29, s31
	s_add_co_u32 s2, s34, s27
	s_add_co_ci_u32 s2, s35, s21
	s_mul_i32 s30, s29, s31
	s_add_co_ci_u32 s31, s33, 0
	s_delay_alu instid0(SALU_CYCLE_1) | instskip(NEXT) | instid1(SALU_CYCLE_1)
	s_add_nc_u64 s[30:31], s[2:3], s[30:31]
	s_add_co_u32 s28, s28, s30
	s_cselect_b32 s2, -1, 0
	v_mul_hi_u32 v22, v14, s28
	s_cmp_lg_u32 s2, 0
	s_add_co_ci_u32 s2, s29, s31
	s_and_b64 s[30:31], s[28:29], s[14:15]
	v_mul_u64_e32 v[16:17], s[2:3], v[14:15]
	v_mul_u64_e32 v[12:13], s[30:31], v[18:19]
	;; [unrolled: 1-line block ×3, first 2 shown]
	s_delay_alu instid0(VALU_DEP_3) | instskip(NEXT) | instid1(VALU_DEP_1)
	v_add_nc_u64_e32 v[16:17], v[22:23], v[16:17]
	v_add_co_u32 v7, vcc_lo, v16, v12
	s_delay_alu instid0(VALU_DEP_2) | instskip(NEXT) | instid1(VALU_DEP_4)
	v_add_co_ci_u32_e32 v22, vcc_lo, v17, v13, vcc_lo
	v_add_co_ci_u32_e32 v21, vcc_lo, 0, v21, vcc_lo
	s_delay_alu instid0(VALU_DEP_1) | instskip(NEXT) | instid1(VALU_DEP_1)
	v_add_nc_u64_e32 v[12:13], v[22:23], v[20:21]
	v_mul_u64_e32 v[16:17], s[22:23], v[12:13]
	s_delay_alu instid0(VALU_DEP_1) | instskip(NEXT) | instid1(VALU_DEP_2)
	v_sub_nc_u32_e32 v7, v18, v17
	v_sub_co_u32 v11, vcc_lo, v14, v16
	s_delay_alu instid0(VALU_DEP_1) | instskip(NEXT) | instid1(VALU_DEP_3)
	v_sub_co_ci_u32_e64 v18, null, v18, v17, vcc_lo
	v_subrev_co_ci_u32_e64 v7, null, s23, v7, vcc_lo
	s_delay_alu instid0(VALU_DEP_3) | instskip(SKIP_1) | instid1(VALU_DEP_3)
	v_sub_co_u32 v14, s2, v11, s22
	v_add_nc_u64_e32 v[16:17], 1, v[12:13]
	v_subrev_co_ci_u32_e64 v7, null, 0, v7, s2
	s_delay_alu instid0(VALU_DEP_3) | instskip(SKIP_1) | instid1(VALU_DEP_3)
	v_cmp_le_u32_e32 vcc_lo, s22, v14
	v_cndmask_b32_e64 v14, 0, -1, vcc_lo
	v_cmp_le_u32_e32 vcc_lo, s23, v7
	v_cndmask_b32_e64 v15, 0, -1, vcc_lo
	;; [unrolled: 2-line block ×4, first 2 shown]
	v_cmp_eq_u32_e32 vcc_lo, s23, v7
	v_cndmask_b32_e32 v7, v15, v14, vcc_lo
	v_cmp_eq_u32_e32 vcc_lo, s23, v18
	v_add_nc_u64_e32 v[14:15], 2, v[12:13]
	v_cndmask_b32_e32 v11, v19, v11, vcc_lo
	s_delay_alu instid0(VALU_DEP_4) | instskip(NEXT) | instid1(VALU_DEP_2)
	v_cmp_ne_u32_e32 vcc_lo, 0, v7
	v_cmp_ne_u32_e64 s2, 0, v11
	s_delay_alu instid0(VALU_DEP_4) | instskip(NEXT) | instid1(VALU_DEP_1)
	v_dual_cndmask_b32 v7, v17, v15, vcc_lo :: v_dual_cndmask_b32 v11, v16, v14, vcc_lo
	v_dual_cndmask_b32 v7, v13, v7, s2 :: v_dual_bitop2_b32 v10, s20, v10 bitop3:0x14
	s_delay_alu instid0(VALU_DEP_1) | instskip(NEXT) | instid1(VALU_DEP_2)
	v_dual_cndmask_b32 v12, v12, v11, s2 :: v_dual_mov_b32 v11, v10
	v_xor_b32_e32 v13, v7, v10
	s_delay_alu instid0(VALU_DEP_2) | instskip(NEXT) | instid1(VALU_DEP_1)
	v_xor_b32_e32 v12, v12, v10
	v_sub_nc_u64_e32 v[10:11], v[12:13], v[10:11]
.LBB7_5:                                ;   in Loop: Header=BB7_3 Depth=1
	s_and_not1_saveexec_b32 s2, s26
	s_cbranch_execz .LBB7_7
; %bb.6:                                ;   in Loop: Header=BB7_3 Depth=1
	v_cvt_f32_u32_e32 v7, s18
	s_sub_co_i32 s20, 0, s18
	s_delay_alu instid0(VALU_DEP_1) | instskip(SKIP_1) | instid1(TRANS32_DEP_1)
	v_rcp_iflag_f32_e32 v7, v7
	v_nop
	v_mul_f32_e32 v7, 0x4f7ffffe, v7
	s_delay_alu instid0(VALU_DEP_1) | instskip(NEXT) | instid1(VALU_DEP_1)
	v_cvt_u32_f32_e32 v7, v7
	v_mul_lo_u32 v10, s20, v7
	s_delay_alu instid0(VALU_DEP_1) | instskip(NEXT) | instid1(VALU_DEP_1)
	v_mul_hi_u32 v10, v7, v10
	v_add_nc_u32_e32 v7, v7, v10
	s_delay_alu instid0(VALU_DEP_1) | instskip(NEXT) | instid1(VALU_DEP_1)
	v_mul_hi_u32 v7, v8, v7
	v_mul_lo_u32 v10, v7, s18
	s_delay_alu instid0(VALU_DEP_1) | instskip(NEXT) | instid1(VALU_DEP_1)
	v_dual_add_nc_u32 v11, 1, v7 :: v_dual_sub_nc_u32 v10, v8, v10
	v_subrev_nc_u32_e32 v12, s18, v10
	v_cmp_le_u32_e32 vcc_lo, s18, v10
	s_delay_alu instid0(VALU_DEP_2) | instskip(NEXT) | instid1(VALU_DEP_1)
	v_dual_cndmask_b32 v10, v10, v12 :: v_dual_cndmask_b32 v7, v7, v11
	v_cmp_le_u32_e32 vcc_lo, s18, v10
	s_delay_alu instid0(VALU_DEP_2) | instskip(NEXT) | instid1(VALU_DEP_1)
	v_add_nc_u32_e32 v11, 1, v7
	v_dual_cndmask_b32 v10, v7, v11 :: v_dual_mov_b32 v11, v6
.LBB7_7:                                ;   in Loop: Header=BB7_3 Depth=1
	s_or_b32 exec_lo, exec_lo, s2
	s_delay_alu instid0(VALU_DEP_1)
	v_mul_u64_e32 v[12:13], s[18:19], v[10:11]
	s_load_b64 s[18:19], s[16:17], 0xc8
	s_add_co_i32 s25, s25, -1
	s_wait_xcnt 0x0
	s_add_nc_u64 s[16:17], s[16:17], -8
	s_cmp_gt_u32 s25, 2
	s_delay_alu instid0(VALU_DEP_1) | instskip(SKIP_1) | instid1(VALU_DEP_1)
	v_sub_nc_u64_e32 v[8:9], v[8:9], v[12:13]
	s_wait_kmcnt 0x0
	v_mad_nc_u64_u32 v[4:5], s18, v8, v[4:5]
	s_delay_alu instid0(VALU_DEP_1) | instskip(NEXT) | instid1(VALU_DEP_1)
	v_mad_u32 v5, s19, v8, v5
	v_mad_u32 v5, s18, v9, v5
	s_cbranch_scc0 .LBB7_10
; %bb.8:                                ;   in Loop: Header=BB7_3 Depth=1
	v_mov_b64_e32 v[8:9], v[10:11]
	s_branch .LBB7_3
.LBB7_9:
	v_mov_b64_e32 v[10:11], v[0:1]
.LBB7_10:
	v_mul_u64_e32 v[8:9], s[12:13], v[2:3]
	v_mul_u64_e32 v[6:7], s[10:11], v[2:3]
	s_clause 0x2
	s_load_b64 s[10:11], s[0:1], 0x1a8
	s_load_b32 s3, s[8:9], 0xd0
	s_load_b64 s[12:13], s[8:9], 0x0
	s_ashr_i32 s2, s24, 31
	s_wait_xcnt 0x0
	s_load_b64 s[0:1], s[0:1], 0x0
	s_wait_kmcnt 0x0
	v_mad_u32 v5, s3, v10, v4
	s_ashr_i32 s3, s5, 31
	s_delay_alu instid0(VALU_DEP_3) | instskip(SKIP_1) | instid1(VALU_DEP_4)
	v_mul_lo_u32 v3, v9, s4
	v_mov_b32_e32 v4, 0
	v_mul_lo_u32 v7, v7, s7
	s_delay_alu instid0(VALU_DEP_3) | instskip(NEXT) | instid1(VALU_DEP_3)
	v_sub_nc_u32_e32 v3, v2, v3
	v_ashrrev_i64 v[4:5], 29, v[4:5]
	s_delay_alu instid0(VALU_DEP_3) | instskip(NEXT) | instid1(VALU_DEP_3)
	v_sub_nc_u32_e32 v7, v2, v7
	v_subrev_nc_u32_e32 v8, s4, v3
	v_cmp_le_u32_e32 vcc_lo, s4, v3
	v_add_nc_u32_e32 v6, 1, v9
	v_add_nc_u64_e32 v[4:5], s[12:13], v[4:5]
	s_delay_alu instid0(VALU_DEP_2)
	v_dual_cndmask_b32 v3, v3, v8 :: v_dual_cndmask_b32 v6, v9, v6
	v_xor_b32_e32 v9, s2, v1
	s_mov_b32 s2, s5
	global_load_b64 v[4:5], v[4:5], off
	v_cmp_le_u32_e32 vcc_lo, s4, v3
	v_add_nc_u32_e32 v8, 1, v6
	s_delay_alu instid0(VALU_DEP_1)
	v_cndmask_b32_e32 v6, v6, v8, vcc_lo
	v_cmp_le_u32_e32 vcc_lo, s7, v7
	s_wait_loadcnt 0x0
	v_mul_u64_e32 v[2:3], s[2:3], v[4:5]
	v_subrev_nc_u32_e32 v5, s7, v7
	s_mul_i32 s2, s6, s5
	s_delay_alu instid0(VALU_DEP_1) | instskip(NEXT) | instid1(VALU_DEP_1)
	v_cndmask_b32_e32 v5, v7, v5, vcc_lo
	v_cmp_le_u32_e32 vcc_lo, s7, v5
	v_xor_b32_e32 v4, v6, v9
	v_subrev_nc_u32_e32 v6, s7, v5
	s_delay_alu instid0(VALU_DEP_1) | instskip(NEXT) | instid1(VALU_DEP_1)
	v_dual_cndmask_b32 v6, v5, v6, vcc_lo :: v_dual_sub_nc_u32 v4, v4, v9
	v_xor_b32_e32 v6, v6, v1
	s_delay_alu instid0(VALU_DEP_2) | instskip(NEXT) | instid1(VALU_DEP_2)
	v_mul_lo_u32 v4, s2, v4
	v_sub_nc_u32_e32 v6, v6, v1
	v_lshl_add_u64 v[0:1], v[0:1], 3, s[0:1]
	s_mov_b32 s0, 0
	s_delay_alu instid0(VALU_DEP_2) | instskip(NEXT) | instid1(VALU_DEP_1)
	v_dual_ashrrev_i32 v7, 31, v6 :: v_dual_ashrrev_i32 v5, 31, v4
	v_lshl_add_u64 v[4:5], v[4:5], 3, s[10:11]
	s_delay_alu instid0(VALU_DEP_1) | instskip(NEXT) | instid1(VALU_DEP_1)
	v_lshl_add_u64 v[2:3], v[2:3], 3, v[4:5]
	v_lshl_add_u64 v[4:5], v[6:7], 3, v[2:3]
	global_load_b64 v[6:7], v[0:1], off
	global_load_b64 v[2:3], v[4:5], off scope:SCOPE_SYS
.LBB7_11:                               ; =>This Inner Loop Header: Depth=1
	s_wait_loadcnt 0x0
	s_delay_alu instid0(VALU_DEP_1)
	v_add_nc_u64_e32 v[0:1], v[2:3], v[6:7]
	global_atomic_cmpswap_b64 v[0:1], v[4:5], v[0:3], off th:TH_ATOMIC_RETURN scope:SCOPE_DEV
	s_wait_loadcnt 0x0
	v_cmp_eq_u64_e32 vcc_lo, v[2:3], v[0:1]
	v_mov_b64_e32 v[2:3], v[0:1]
	s_or_b32 s0, vcc_lo, s0
	s_delay_alu instid0(SALU_CYCLE_1)
	s_and_not1_b32 exec_lo, exec_lo, s0
	s_cbranch_execnz .LBB7_11
.LBB7_12:
	s_endpgm
	.section	.rodata,"a",@progbits
	.p2align	6, 0x0
	.amdhsa_kernel _Z14scatter_kernelIlL13ReductionType0EEvPKT_10TensorInfoIllEPS1_iiii
		.amdhsa_group_segment_fixed_size 0
		.amdhsa_private_segment_fixed_size 0
		.amdhsa_kernarg_size 704
		.amdhsa_user_sgpr_count 2
		.amdhsa_user_sgpr_dispatch_ptr 0
		.amdhsa_user_sgpr_queue_ptr 0
		.amdhsa_user_sgpr_kernarg_segment_ptr 1
		.amdhsa_user_sgpr_dispatch_id 0
		.amdhsa_user_sgpr_kernarg_preload_length 0
		.amdhsa_user_sgpr_kernarg_preload_offset 0
		.amdhsa_user_sgpr_private_segment_size 0
		.amdhsa_wavefront_size32 1
		.amdhsa_uses_dynamic_stack 0
		.amdhsa_enable_private_segment 0
		.amdhsa_system_sgpr_workgroup_id_x 1
		.amdhsa_system_sgpr_workgroup_id_y 0
		.amdhsa_system_sgpr_workgroup_id_z 0
		.amdhsa_system_sgpr_workgroup_info 0
		.amdhsa_system_vgpr_workitem_id 0
		.amdhsa_next_free_vgpr 24
		.amdhsa_next_free_sgpr 38
		.amdhsa_named_barrier_count 0
		.amdhsa_reserve_vcc 1
		.amdhsa_float_round_mode_32 0
		.amdhsa_float_round_mode_16_64 0
		.amdhsa_float_denorm_mode_32 3
		.amdhsa_float_denorm_mode_16_64 3
		.amdhsa_fp16_overflow 0
		.amdhsa_memory_ordered 1
		.amdhsa_forward_progress 1
		.amdhsa_inst_pref_size 12
		.amdhsa_round_robin_scheduling 0
		.amdhsa_exception_fp_ieee_invalid_op 0
		.amdhsa_exception_fp_denorm_src 0
		.amdhsa_exception_fp_ieee_div_zero 0
		.amdhsa_exception_fp_ieee_overflow 0
		.amdhsa_exception_fp_ieee_underflow 0
		.amdhsa_exception_fp_ieee_inexact 0
		.amdhsa_exception_int_div_zero 0
	.end_amdhsa_kernel
	.section	.text._Z14scatter_kernelIlL13ReductionType0EEvPKT_10TensorInfoIllEPS1_iiii,"axG",@progbits,_Z14scatter_kernelIlL13ReductionType0EEvPKT_10TensorInfoIllEPS1_iiii,comdat
.Lfunc_end7:
	.size	_Z14scatter_kernelIlL13ReductionType0EEvPKT_10TensorInfoIllEPS1_iiii, .Lfunc_end7-_Z14scatter_kernelIlL13ReductionType0EEvPKT_10TensorInfoIllEPS1_iiii
                                        ; -- End function
	.set _Z14scatter_kernelIlL13ReductionType0EEvPKT_10TensorInfoIllEPS1_iiii.num_vgpr, 24
	.set _Z14scatter_kernelIlL13ReductionType0EEvPKT_10TensorInfoIllEPS1_iiii.num_agpr, 0
	.set _Z14scatter_kernelIlL13ReductionType0EEvPKT_10TensorInfoIllEPS1_iiii.numbered_sgpr, 38
	.set _Z14scatter_kernelIlL13ReductionType0EEvPKT_10TensorInfoIllEPS1_iiii.num_named_barrier, 0
	.set _Z14scatter_kernelIlL13ReductionType0EEvPKT_10TensorInfoIllEPS1_iiii.private_seg_size, 0
	.set _Z14scatter_kernelIlL13ReductionType0EEvPKT_10TensorInfoIllEPS1_iiii.uses_vcc, 1
	.set _Z14scatter_kernelIlL13ReductionType0EEvPKT_10TensorInfoIllEPS1_iiii.uses_flat_scratch, 0
	.set _Z14scatter_kernelIlL13ReductionType0EEvPKT_10TensorInfoIllEPS1_iiii.has_dyn_sized_stack, 0
	.set _Z14scatter_kernelIlL13ReductionType0EEvPKT_10TensorInfoIllEPS1_iiii.has_recursion, 0
	.set _Z14scatter_kernelIlL13ReductionType0EEvPKT_10TensorInfoIllEPS1_iiii.has_indirect_call, 0
	.section	.AMDGPU.csdata,"",@progbits
; Kernel info:
; codeLenInByte = 1524
; TotalNumSgprs: 40
; NumVgprs: 24
; ScratchSize: 0
; MemoryBound: 0
; FloatMode: 240
; IeeeMode: 1
; LDSByteSize: 0 bytes/workgroup (compile time only)
; SGPRBlocks: 0
; VGPRBlocks: 1
; NumSGPRsForWavesPerEU: 40
; NumVGPRsForWavesPerEU: 24
; NamedBarCnt: 0
; Occupancy: 16
; WaveLimiterHint : 1
; COMPUTE_PGM_RSRC2:SCRATCH_EN: 0
; COMPUTE_PGM_RSRC2:USER_SGPR: 2
; COMPUTE_PGM_RSRC2:TRAP_HANDLER: 0
; COMPUTE_PGM_RSRC2:TGID_X_EN: 1
; COMPUTE_PGM_RSRC2:TGID_Y_EN: 0
; COMPUTE_PGM_RSRC2:TGID_Z_EN: 0
; COMPUTE_PGM_RSRC2:TIDIG_COMP_CNT: 0
	.section	.text._Z14scatter_kernelIlL13ReductionType3EEvPKT_10TensorInfoIllEPS1_iiii,"axG",@progbits,_Z14scatter_kernelIlL13ReductionType3EEvPKT_10TensorInfoIllEPS1_iiii,comdat
	.protected	_Z14scatter_kernelIlL13ReductionType3EEvPKT_10TensorInfoIllEPS1_iiii ; -- Begin function _Z14scatter_kernelIlL13ReductionType3EEvPKT_10TensorInfoIllEPS1_iiii
	.globl	_Z14scatter_kernelIlL13ReductionType3EEvPKT_10TensorInfoIllEPS1_iiii
	.p2align	8
	.type	_Z14scatter_kernelIlL13ReductionType3EEvPKT_10TensorInfoIllEPS1_iiii,@function
_Z14scatter_kernelIlL13ReductionType3EEvPKT_10TensorInfoIllEPS1_iiii: ; @_Z14scatter_kernelIlL13ReductionType3EEvPKT_10TensorInfoIllEPS1_iiii
; %bb.0:
	s_clause 0x1
	s_load_b32 s2, s[0:1], 0x1cc
	s_load_b128 s[4:7], s[0:1], 0x1b0
	s_bfe_u32 s3, ttmp6, 0x4000c
	s_and_b32 s8, ttmp6, 15
	s_add_co_i32 s3, s3, 1
	s_getreg_b32 s9, hwreg(HW_REG_IB_STS2, 6, 4)
	s_mul_i32 s3, ttmp9, s3
	s_mov_b32 s11, 0
	s_add_co_i32 s8, s8, s3
	s_wait_kmcnt 0x0
	s_and_b32 s2, s2, 0xffff
	s_cmp_eq_u32 s9, 0
	s_cselect_b32 s3, ttmp9, s8
	s_delay_alu instid0(SALU_CYCLE_1) | instskip(SKIP_1) | instid1(VALU_DEP_1)
	v_mad_u32 v0, s3, s2, v0
	s_mov_b32 s2, exec_lo
	v_cmpx_gt_i32_e64 s7, v0
	s_cbranch_execz .LBB8_12
; %bb.1:
	s_abs_i32 s7, s5
	s_mul_i32 s24, s5, s4
	s_cvt_f32_u32 s2, s7
	s_abs_i32 s4, s24
	s_load_b32 s16, s[0:1], 0x1a0
	s_cvt_f32_u32 s3, s4
	v_rcp_iflag_f32_e32 v1, s2
	s_sub_co_i32 s10, 0, s7
	s_sub_co_i32 s12, 0, s4
	v_rcp_iflag_f32_e32 v2, s3
	v_mov_b64_e32 v[4:5], 0
	s_add_nc_u64 s[8:9], s[0:1], 8
	s_mov_b32 s13, s11
	v_readfirstlane_b32 s2, v1
	v_dual_mov_b32 v6, 0 :: v_dual_sub_nc_u32 v1, 0, v0
	s_delay_alu instid0(TRANS32_DEP_1) | instskip(SKIP_3) | instid1(SALU_CYCLE_1)
	v_readfirstlane_b32 s3, v2
	s_mul_f32 s2, s2, 0x4f7ffffe
	v_dual_mov_b32 v3, v6 :: v_dual_max_i32 v2, v0, v1
	s_mul_f32 s3, s3, 0x4f7ffffe
	s_cvt_u32_f32 s2, s2
	v_ashrrev_i32_e32 v1, 31, v0
	s_delay_alu instid0(SALU_CYCLE_1) | instskip(NEXT) | instid1(SALU_CYCLE_1)
	s_cvt_u32_f32 s3, s3
	s_mul_i32 s10, s10, s2
	s_delay_alu instid0(SALU_CYCLE_1) | instskip(NEXT) | instid1(SALU_CYCLE_1)
	s_mul_hi_u32 s10, s2, s10
	s_mul_i32 s12, s12, s3
	s_add_co_i32 s10, s2, s10
	s_mul_hi_u32 s2, s3, s12
	s_delay_alu instid0(SALU_CYCLE_1)
	s_add_co_i32 s12, s3, s2
	s_wait_kmcnt 0x0
	s_cmp_lt_i32 s16, 2
	s_cbranch_scc1 .LBB8_9
; %bb.2:
	s_add_co_i32 s2, s16, -1
	s_mov_b32 s3, 0
	v_mov_b64_e32 v[4:5], 0
	v_mov_b64_e32 v[8:9], v[0:1]
	s_lshl_b64 s[18:19], s[2:3], 3
	s_mov_b64 s[14:15], 0xffffffff
	s_add_nc_u64 s[18:19], s[8:9], s[18:19]
	s_add_co_i32 s25, s16, 1
	s_add_nc_u64 s[16:17], s[18:19], 8
.LBB8_3:                                ; =>This Inner Loop Header: Depth=1
	s_load_b64 s[18:19], s[16:17], 0x0
                                        ; implicit-def: $vgpr10_vgpr11
	s_mov_b32 s2, exec_lo
	s_wait_kmcnt 0x0
	s_delay_alu instid0(VALU_DEP_1) | instskip(NEXT) | instid1(VALU_DEP_1)
	v_or_b32_e32 v7, s19, v9
	v_cmpx_ne_u64_e32 0, v[6:7]
	s_xor_b32 s26, exec_lo, s2
	s_cbranch_execz .LBB8_5
; %bb.4:                                ;   in Loop: Header=BB8_3 Depth=1
	s_ashr_i32 s20, s19, 31
	v_dual_mov_b32 v15, v6 :: v_dual_ashrrev_i32 v10, 31, v9
	s_mov_b32 s21, s20
	v_mov_b32_e32 v23, v6
	s_add_nc_u64 s[22:23], s[18:19], s[20:21]
	s_delay_alu instid0(VALU_DEP_2) | instskip(SKIP_1) | instid1(SALU_CYCLE_1)
	v_mov_b32_e32 v11, v10
	s_xor_b64 s[22:23], s[22:23], s[20:21]
	s_cvt_f32_u32 s2, s22
	s_cvt_f32_u32 s21, s23
	s_sub_nc_u64 s[30:31], 0, s[22:23]
	v_add_nc_u64_e32 v[12:13], v[8:9], v[10:11]
	v_mov_b32_e32 v19, v6
	s_fmamk_f32 s2, s21, 0x4f800000, s2
	s_delay_alu instid0(SALU_CYCLE_3) | instskip(NEXT) | instid1(VALU_DEP_2)
	v_s_rcp_f32 s2, s2
	v_xor_b32_e32 v14, v12, v10
	s_delay_alu instid0(VALU_DEP_3) | instskip(NEXT) | instid1(TRANS32_DEP_1)
	v_xor_b32_e32 v18, v13, v10
	s_mul_f32 s2, s2, 0x5f7ffffc
	s_delay_alu instid0(SALU_CYCLE_3) | instskip(NEXT) | instid1(SALU_CYCLE_3)
	s_mul_f32 s21, s2, 0x2f800000
	s_trunc_f32 s21, s21
	s_delay_alu instid0(SALU_CYCLE_3) | instskip(SKIP_1) | instid1(SALU_CYCLE_2)
	s_fmamk_f32 s2, s21, 0xcf800000, s2
	s_cvt_u32_f32 s29, s21
	s_cvt_u32_f32 s28, s2
	s_delay_alu instid0(SALU_CYCLE_3) | instskip(NEXT) | instid1(SALU_CYCLE_1)
	s_mul_u64 s[34:35], s[30:31], s[28:29]
	s_mul_hi_u32 s37, s28, s35
	s_mul_i32 s36, s28, s35
	s_mul_hi_u32 s2, s28, s34
	s_mul_i32 s27, s29, s34
	s_add_nc_u64 s[36:37], s[2:3], s[36:37]
	s_mul_hi_u32 s21, s29, s34
	s_mul_hi_u32 s33, s29, s35
	s_add_co_u32 s2, s36, s27
	s_add_co_ci_u32 s2, s37, s21
	s_mul_i32 s34, s29, s35
	s_add_co_ci_u32 s35, s33, 0
	s_delay_alu instid0(SALU_CYCLE_1) | instskip(NEXT) | instid1(SALU_CYCLE_1)
	s_add_nc_u64 s[34:35], s[2:3], s[34:35]
	s_add_co_u32 s28, s28, s34
	s_cselect_b32 s2, -1, 0
	s_delay_alu instid0(SALU_CYCLE_1) | instskip(SKIP_1) | instid1(SALU_CYCLE_1)
	s_cmp_lg_u32 s2, 0
	s_add_co_ci_u32 s29, s29, s35
	s_mul_u64 s[30:31], s[30:31], s[28:29]
	s_delay_alu instid0(SALU_CYCLE_1)
	s_mul_hi_u32 s35, s28, s31
	s_mul_i32 s34, s28, s31
	s_mul_hi_u32 s2, s28, s30
	s_mul_i32 s27, s29, s30
	s_add_nc_u64 s[34:35], s[2:3], s[34:35]
	s_mul_hi_u32 s21, s29, s30
	s_mul_hi_u32 s33, s29, s31
	s_add_co_u32 s2, s34, s27
	s_add_co_ci_u32 s2, s35, s21
	s_mul_i32 s30, s29, s31
	s_add_co_ci_u32 s31, s33, 0
	s_delay_alu instid0(SALU_CYCLE_1) | instskip(NEXT) | instid1(SALU_CYCLE_1)
	s_add_nc_u64 s[30:31], s[2:3], s[30:31]
	s_add_co_u32 s28, s28, s30
	s_cselect_b32 s2, -1, 0
	v_mul_hi_u32 v22, v14, s28
	s_cmp_lg_u32 s2, 0
	s_add_co_ci_u32 s2, s29, s31
	s_and_b64 s[30:31], s[28:29], s[14:15]
	v_mul_u64_e32 v[16:17], s[2:3], v[14:15]
	v_mul_u64_e32 v[12:13], s[30:31], v[18:19]
	;; [unrolled: 1-line block ×3, first 2 shown]
	s_delay_alu instid0(VALU_DEP_3) | instskip(NEXT) | instid1(VALU_DEP_1)
	v_add_nc_u64_e32 v[16:17], v[22:23], v[16:17]
	v_add_co_u32 v7, vcc_lo, v16, v12
	s_delay_alu instid0(VALU_DEP_2) | instskip(NEXT) | instid1(VALU_DEP_4)
	v_add_co_ci_u32_e32 v22, vcc_lo, v17, v13, vcc_lo
	v_add_co_ci_u32_e32 v21, vcc_lo, 0, v21, vcc_lo
	s_delay_alu instid0(VALU_DEP_1) | instskip(NEXT) | instid1(VALU_DEP_1)
	v_add_nc_u64_e32 v[12:13], v[22:23], v[20:21]
	v_mul_u64_e32 v[16:17], s[22:23], v[12:13]
	s_delay_alu instid0(VALU_DEP_1) | instskip(NEXT) | instid1(VALU_DEP_2)
	v_sub_nc_u32_e32 v7, v18, v17
	v_sub_co_u32 v11, vcc_lo, v14, v16
	s_delay_alu instid0(VALU_DEP_1) | instskip(NEXT) | instid1(VALU_DEP_3)
	v_sub_co_ci_u32_e64 v18, null, v18, v17, vcc_lo
	v_subrev_co_ci_u32_e64 v7, null, s23, v7, vcc_lo
	s_delay_alu instid0(VALU_DEP_3) | instskip(SKIP_1) | instid1(VALU_DEP_3)
	v_sub_co_u32 v14, s2, v11, s22
	v_add_nc_u64_e32 v[16:17], 1, v[12:13]
	v_subrev_co_ci_u32_e64 v7, null, 0, v7, s2
	s_delay_alu instid0(VALU_DEP_3) | instskip(SKIP_1) | instid1(VALU_DEP_3)
	v_cmp_le_u32_e32 vcc_lo, s22, v14
	v_cndmask_b32_e64 v14, 0, -1, vcc_lo
	v_cmp_le_u32_e32 vcc_lo, s23, v7
	v_cndmask_b32_e64 v15, 0, -1, vcc_lo
	;; [unrolled: 2-line block ×4, first 2 shown]
	v_cmp_eq_u32_e32 vcc_lo, s23, v7
	v_cndmask_b32_e32 v7, v15, v14, vcc_lo
	v_cmp_eq_u32_e32 vcc_lo, s23, v18
	v_add_nc_u64_e32 v[14:15], 2, v[12:13]
	v_cndmask_b32_e32 v11, v19, v11, vcc_lo
	s_delay_alu instid0(VALU_DEP_4) | instskip(NEXT) | instid1(VALU_DEP_2)
	v_cmp_ne_u32_e32 vcc_lo, 0, v7
	v_cmp_ne_u32_e64 s2, 0, v11
	s_delay_alu instid0(VALU_DEP_4) | instskip(NEXT) | instid1(VALU_DEP_1)
	v_dual_cndmask_b32 v7, v17, v15, vcc_lo :: v_dual_cndmask_b32 v11, v16, v14, vcc_lo
	v_dual_cndmask_b32 v7, v13, v7, s2 :: v_dual_bitop2_b32 v10, s20, v10 bitop3:0x14
	s_delay_alu instid0(VALU_DEP_1) | instskip(NEXT) | instid1(VALU_DEP_2)
	v_dual_cndmask_b32 v12, v12, v11, s2 :: v_dual_mov_b32 v11, v10
	v_xor_b32_e32 v13, v7, v10
	s_delay_alu instid0(VALU_DEP_2) | instskip(NEXT) | instid1(VALU_DEP_1)
	v_xor_b32_e32 v12, v12, v10
	v_sub_nc_u64_e32 v[10:11], v[12:13], v[10:11]
.LBB8_5:                                ;   in Loop: Header=BB8_3 Depth=1
	s_and_not1_saveexec_b32 s2, s26
	s_cbranch_execz .LBB8_7
; %bb.6:                                ;   in Loop: Header=BB8_3 Depth=1
	v_cvt_f32_u32_e32 v7, s18
	s_sub_co_i32 s20, 0, s18
	s_delay_alu instid0(VALU_DEP_1) | instskip(SKIP_1) | instid1(TRANS32_DEP_1)
	v_rcp_iflag_f32_e32 v7, v7
	v_nop
	v_mul_f32_e32 v7, 0x4f7ffffe, v7
	s_delay_alu instid0(VALU_DEP_1) | instskip(NEXT) | instid1(VALU_DEP_1)
	v_cvt_u32_f32_e32 v7, v7
	v_mul_lo_u32 v10, s20, v7
	s_delay_alu instid0(VALU_DEP_1) | instskip(NEXT) | instid1(VALU_DEP_1)
	v_mul_hi_u32 v10, v7, v10
	v_add_nc_u32_e32 v7, v7, v10
	s_delay_alu instid0(VALU_DEP_1) | instskip(NEXT) | instid1(VALU_DEP_1)
	v_mul_hi_u32 v7, v8, v7
	v_mul_lo_u32 v10, v7, s18
	s_delay_alu instid0(VALU_DEP_1) | instskip(NEXT) | instid1(VALU_DEP_1)
	v_dual_add_nc_u32 v11, 1, v7 :: v_dual_sub_nc_u32 v10, v8, v10
	v_subrev_nc_u32_e32 v12, s18, v10
	v_cmp_le_u32_e32 vcc_lo, s18, v10
	s_delay_alu instid0(VALU_DEP_2) | instskip(NEXT) | instid1(VALU_DEP_1)
	v_dual_cndmask_b32 v10, v10, v12 :: v_dual_cndmask_b32 v7, v7, v11
	v_cmp_le_u32_e32 vcc_lo, s18, v10
	s_delay_alu instid0(VALU_DEP_2) | instskip(NEXT) | instid1(VALU_DEP_1)
	v_add_nc_u32_e32 v11, 1, v7
	v_dual_cndmask_b32 v10, v7, v11 :: v_dual_mov_b32 v11, v6
.LBB8_7:                                ;   in Loop: Header=BB8_3 Depth=1
	s_or_b32 exec_lo, exec_lo, s2
	s_delay_alu instid0(VALU_DEP_1)
	v_mul_u64_e32 v[12:13], s[18:19], v[10:11]
	s_load_b64 s[18:19], s[16:17], 0xc8
	s_add_co_i32 s25, s25, -1
	s_wait_xcnt 0x0
	s_add_nc_u64 s[16:17], s[16:17], -8
	s_cmp_gt_u32 s25, 2
	s_delay_alu instid0(VALU_DEP_1) | instskip(SKIP_1) | instid1(VALU_DEP_1)
	v_sub_nc_u64_e32 v[8:9], v[8:9], v[12:13]
	s_wait_kmcnt 0x0
	v_mad_nc_u64_u32 v[4:5], s18, v8, v[4:5]
	s_delay_alu instid0(VALU_DEP_1) | instskip(NEXT) | instid1(VALU_DEP_1)
	v_mad_u32 v5, s19, v8, v5
	v_mad_u32 v5, s18, v9, v5
	s_cbranch_scc0 .LBB8_10
; %bb.8:                                ;   in Loop: Header=BB8_3 Depth=1
	v_mov_b64_e32 v[8:9], v[10:11]
	s_branch .LBB8_3
.LBB8_9:
	v_mov_b64_e32 v[10:11], v[0:1]
.LBB8_10:
	v_mul_u64_e32 v[8:9], s[12:13], v[2:3]
	v_mul_u64_e32 v[6:7], s[10:11], v[2:3]
	s_clause 0x2
	s_load_b64 s[10:11], s[0:1], 0x1a8
	s_load_b32 s3, s[8:9], 0xd0
	s_load_b64 s[12:13], s[8:9], 0x0
	s_ashr_i32 s2, s24, 31
	s_wait_xcnt 0x0
	s_load_b64 s[0:1], s[0:1], 0x0
	s_wait_kmcnt 0x0
	v_mad_u32 v5, s3, v10, v4
	s_ashr_i32 s3, s5, 31
	s_delay_alu instid0(VALU_DEP_3) | instskip(SKIP_1) | instid1(VALU_DEP_4)
	v_mul_lo_u32 v3, v9, s4
	v_mov_b32_e32 v4, 0
	v_mul_lo_u32 v7, v7, s7
	s_delay_alu instid0(VALU_DEP_3) | instskip(NEXT) | instid1(VALU_DEP_3)
	v_sub_nc_u32_e32 v3, v2, v3
	v_ashrrev_i64 v[4:5], 29, v[4:5]
	s_delay_alu instid0(VALU_DEP_3) | instskip(NEXT) | instid1(VALU_DEP_3)
	v_sub_nc_u32_e32 v7, v2, v7
	v_subrev_nc_u32_e32 v8, s4, v3
	v_cmp_le_u32_e32 vcc_lo, s4, v3
	v_add_nc_u32_e32 v6, 1, v9
	v_add_nc_u64_e32 v[4:5], s[12:13], v[4:5]
	s_delay_alu instid0(VALU_DEP_2)
	v_dual_cndmask_b32 v3, v3, v8 :: v_dual_cndmask_b32 v6, v9, v6
	v_xor_b32_e32 v9, s2, v1
	s_mov_b32 s2, s5
	global_load_b64 v[4:5], v[4:5], off
	v_cmp_le_u32_e32 vcc_lo, s4, v3
	v_add_nc_u32_e32 v8, 1, v6
	s_delay_alu instid0(VALU_DEP_1)
	v_cndmask_b32_e32 v6, v6, v8, vcc_lo
	v_cmp_le_u32_e32 vcc_lo, s7, v7
	s_wait_loadcnt 0x0
	v_mul_u64_e32 v[2:3], s[2:3], v[4:5]
	v_subrev_nc_u32_e32 v5, s7, v7
	s_mul_i32 s2, s6, s5
	s_delay_alu instid0(VALU_DEP_1) | instskip(NEXT) | instid1(VALU_DEP_1)
	v_cndmask_b32_e32 v5, v7, v5, vcc_lo
	v_cmp_le_u32_e32 vcc_lo, s7, v5
	v_xor_b32_e32 v4, v6, v9
	v_subrev_nc_u32_e32 v6, s7, v5
	s_delay_alu instid0(VALU_DEP_1) | instskip(NEXT) | instid1(VALU_DEP_1)
	v_dual_cndmask_b32 v6, v5, v6, vcc_lo :: v_dual_sub_nc_u32 v4, v4, v9
	v_xor_b32_e32 v6, v6, v1
	s_delay_alu instid0(VALU_DEP_2) | instskip(NEXT) | instid1(VALU_DEP_2)
	v_mul_lo_u32 v4, s2, v4
	v_sub_nc_u32_e32 v6, v6, v1
	v_lshl_add_u64 v[0:1], v[0:1], 3, s[0:1]
	s_mov_b32 s0, 0
	s_delay_alu instid0(VALU_DEP_2) | instskip(NEXT) | instid1(VALU_DEP_1)
	v_dual_ashrrev_i32 v7, 31, v6 :: v_dual_ashrrev_i32 v5, 31, v4
	v_lshl_add_u64 v[4:5], v[4:5], 3, s[10:11]
	s_delay_alu instid0(VALU_DEP_1) | instskip(NEXT) | instid1(VALU_DEP_1)
	v_lshl_add_u64 v[2:3], v[2:3], 3, v[4:5]
	v_lshl_add_u64 v[4:5], v[6:7], 3, v[2:3]
	global_load_b64 v[6:7], v[0:1], off
	global_load_b64 v[2:3], v[4:5], off scope:SCOPE_SYS
.LBB8_11:                               ; =>This Inner Loop Header: Depth=1
	s_wait_loadcnt 0x0
	s_delay_alu instid0(VALU_DEP_1)
	v_min_i64 v[0:1], v[2:3], v[6:7]
	global_atomic_cmpswap_b64 v[0:1], v[4:5], v[0:3], off th:TH_ATOMIC_RETURN scope:SCOPE_DEV
	s_wait_loadcnt 0x0
	v_cmp_eq_u64_e32 vcc_lo, v[2:3], v[0:1]
	v_mov_b64_e32 v[2:3], v[0:1]
	s_or_b32 s0, vcc_lo, s0
	s_delay_alu instid0(SALU_CYCLE_1)
	s_and_not1_b32 exec_lo, exec_lo, s0
	s_cbranch_execnz .LBB8_11
.LBB8_12:
	s_endpgm
	.section	.rodata,"a",@progbits
	.p2align	6, 0x0
	.amdhsa_kernel _Z14scatter_kernelIlL13ReductionType3EEvPKT_10TensorInfoIllEPS1_iiii
		.amdhsa_group_segment_fixed_size 0
		.amdhsa_private_segment_fixed_size 0
		.amdhsa_kernarg_size 704
		.amdhsa_user_sgpr_count 2
		.amdhsa_user_sgpr_dispatch_ptr 0
		.amdhsa_user_sgpr_queue_ptr 0
		.amdhsa_user_sgpr_kernarg_segment_ptr 1
		.amdhsa_user_sgpr_dispatch_id 0
		.amdhsa_user_sgpr_kernarg_preload_length 0
		.amdhsa_user_sgpr_kernarg_preload_offset 0
		.amdhsa_user_sgpr_private_segment_size 0
		.amdhsa_wavefront_size32 1
		.amdhsa_uses_dynamic_stack 0
		.amdhsa_enable_private_segment 0
		.amdhsa_system_sgpr_workgroup_id_x 1
		.amdhsa_system_sgpr_workgroup_id_y 0
		.amdhsa_system_sgpr_workgroup_id_z 0
		.amdhsa_system_sgpr_workgroup_info 0
		.amdhsa_system_vgpr_workitem_id 0
		.amdhsa_next_free_vgpr 24
		.amdhsa_next_free_sgpr 38
		.amdhsa_named_barrier_count 0
		.amdhsa_reserve_vcc 1
		.amdhsa_float_round_mode_32 0
		.amdhsa_float_round_mode_16_64 0
		.amdhsa_float_denorm_mode_32 3
		.amdhsa_float_denorm_mode_16_64 3
		.amdhsa_fp16_overflow 0
		.amdhsa_memory_ordered 1
		.amdhsa_forward_progress 1
		.amdhsa_inst_pref_size 12
		.amdhsa_round_robin_scheduling 0
		.amdhsa_exception_fp_ieee_invalid_op 0
		.amdhsa_exception_fp_denorm_src 0
		.amdhsa_exception_fp_ieee_div_zero 0
		.amdhsa_exception_fp_ieee_overflow 0
		.amdhsa_exception_fp_ieee_underflow 0
		.amdhsa_exception_fp_ieee_inexact 0
		.amdhsa_exception_int_div_zero 0
	.end_amdhsa_kernel
	.section	.text._Z14scatter_kernelIlL13ReductionType3EEvPKT_10TensorInfoIllEPS1_iiii,"axG",@progbits,_Z14scatter_kernelIlL13ReductionType3EEvPKT_10TensorInfoIllEPS1_iiii,comdat
.Lfunc_end8:
	.size	_Z14scatter_kernelIlL13ReductionType3EEvPKT_10TensorInfoIllEPS1_iiii, .Lfunc_end8-_Z14scatter_kernelIlL13ReductionType3EEvPKT_10TensorInfoIllEPS1_iiii
                                        ; -- End function
	.set _Z14scatter_kernelIlL13ReductionType3EEvPKT_10TensorInfoIllEPS1_iiii.num_vgpr, 24
	.set _Z14scatter_kernelIlL13ReductionType3EEvPKT_10TensorInfoIllEPS1_iiii.num_agpr, 0
	.set _Z14scatter_kernelIlL13ReductionType3EEvPKT_10TensorInfoIllEPS1_iiii.numbered_sgpr, 38
	.set _Z14scatter_kernelIlL13ReductionType3EEvPKT_10TensorInfoIllEPS1_iiii.num_named_barrier, 0
	.set _Z14scatter_kernelIlL13ReductionType3EEvPKT_10TensorInfoIllEPS1_iiii.private_seg_size, 0
	.set _Z14scatter_kernelIlL13ReductionType3EEvPKT_10TensorInfoIllEPS1_iiii.uses_vcc, 1
	.set _Z14scatter_kernelIlL13ReductionType3EEvPKT_10TensorInfoIllEPS1_iiii.uses_flat_scratch, 0
	.set _Z14scatter_kernelIlL13ReductionType3EEvPKT_10TensorInfoIllEPS1_iiii.has_dyn_sized_stack, 0
	.set _Z14scatter_kernelIlL13ReductionType3EEvPKT_10TensorInfoIllEPS1_iiii.has_recursion, 0
	.set _Z14scatter_kernelIlL13ReductionType3EEvPKT_10TensorInfoIllEPS1_iiii.has_indirect_call, 0
	.section	.AMDGPU.csdata,"",@progbits
; Kernel info:
; codeLenInByte = 1528
; TotalNumSgprs: 40
; NumVgprs: 24
; ScratchSize: 0
; MemoryBound: 0
; FloatMode: 240
; IeeeMode: 1
; LDSByteSize: 0 bytes/workgroup (compile time only)
; SGPRBlocks: 0
; VGPRBlocks: 1
; NumSGPRsForWavesPerEU: 40
; NumVGPRsForWavesPerEU: 24
; NamedBarCnt: 0
; Occupancy: 16
; WaveLimiterHint : 1
; COMPUTE_PGM_RSRC2:SCRATCH_EN: 0
; COMPUTE_PGM_RSRC2:USER_SGPR: 2
; COMPUTE_PGM_RSRC2:TRAP_HANDLER: 0
; COMPUTE_PGM_RSRC2:TGID_X_EN: 1
; COMPUTE_PGM_RSRC2:TGID_Y_EN: 0
; COMPUTE_PGM_RSRC2:TGID_Z_EN: 0
; COMPUTE_PGM_RSRC2:TIDIG_COMP_CNT: 0
	.section	.text._Z14scatter_kernelIlL13ReductionType4EEvPKT_10TensorInfoIllEPS1_iiii,"axG",@progbits,_Z14scatter_kernelIlL13ReductionType4EEvPKT_10TensorInfoIllEPS1_iiii,comdat
	.protected	_Z14scatter_kernelIlL13ReductionType4EEvPKT_10TensorInfoIllEPS1_iiii ; -- Begin function _Z14scatter_kernelIlL13ReductionType4EEvPKT_10TensorInfoIllEPS1_iiii
	.globl	_Z14scatter_kernelIlL13ReductionType4EEvPKT_10TensorInfoIllEPS1_iiii
	.p2align	8
	.type	_Z14scatter_kernelIlL13ReductionType4EEvPKT_10TensorInfoIllEPS1_iiii,@function
_Z14scatter_kernelIlL13ReductionType4EEvPKT_10TensorInfoIllEPS1_iiii: ; @_Z14scatter_kernelIlL13ReductionType4EEvPKT_10TensorInfoIllEPS1_iiii
; %bb.0:
	s_clause 0x1
	s_load_b32 s2, s[0:1], 0x1cc
	s_load_b128 s[4:7], s[0:1], 0x1b0
	s_bfe_u32 s3, ttmp6, 0x4000c
	s_and_b32 s8, ttmp6, 15
	s_add_co_i32 s3, s3, 1
	s_getreg_b32 s9, hwreg(HW_REG_IB_STS2, 6, 4)
	s_mul_i32 s3, ttmp9, s3
	s_mov_b32 s11, 0
	s_add_co_i32 s8, s8, s3
	s_wait_kmcnt 0x0
	s_and_b32 s2, s2, 0xffff
	s_cmp_eq_u32 s9, 0
	s_cselect_b32 s3, ttmp9, s8
	s_delay_alu instid0(SALU_CYCLE_1) | instskip(SKIP_1) | instid1(VALU_DEP_1)
	v_mad_u32 v0, s3, s2, v0
	s_mov_b32 s2, exec_lo
	v_cmpx_gt_i32_e64 s7, v0
	s_cbranch_execz .LBB9_12
; %bb.1:
	s_abs_i32 s7, s5
	s_mul_i32 s24, s5, s4
	s_cvt_f32_u32 s2, s7
	s_abs_i32 s4, s24
	s_load_b32 s16, s[0:1], 0x1a0
	s_cvt_f32_u32 s3, s4
	v_rcp_iflag_f32_e32 v1, s2
	s_sub_co_i32 s10, 0, s7
	s_sub_co_i32 s12, 0, s4
	v_rcp_iflag_f32_e32 v2, s3
	v_mov_b64_e32 v[4:5], 0
	s_add_nc_u64 s[8:9], s[0:1], 8
	s_mov_b32 s13, s11
	v_readfirstlane_b32 s2, v1
	v_dual_mov_b32 v6, 0 :: v_dual_sub_nc_u32 v1, 0, v0
	s_delay_alu instid0(TRANS32_DEP_1) | instskip(SKIP_3) | instid1(SALU_CYCLE_1)
	v_readfirstlane_b32 s3, v2
	s_mul_f32 s2, s2, 0x4f7ffffe
	v_dual_mov_b32 v3, v6 :: v_dual_max_i32 v2, v0, v1
	s_mul_f32 s3, s3, 0x4f7ffffe
	s_cvt_u32_f32 s2, s2
	v_ashrrev_i32_e32 v1, 31, v0
	s_delay_alu instid0(SALU_CYCLE_1) | instskip(NEXT) | instid1(SALU_CYCLE_1)
	s_cvt_u32_f32 s3, s3
	s_mul_i32 s10, s10, s2
	s_delay_alu instid0(SALU_CYCLE_1) | instskip(NEXT) | instid1(SALU_CYCLE_1)
	s_mul_hi_u32 s10, s2, s10
	s_mul_i32 s12, s12, s3
	s_add_co_i32 s10, s2, s10
	s_mul_hi_u32 s2, s3, s12
	s_delay_alu instid0(SALU_CYCLE_1)
	s_add_co_i32 s12, s3, s2
	s_wait_kmcnt 0x0
	s_cmp_lt_i32 s16, 2
	s_cbranch_scc1 .LBB9_9
; %bb.2:
	s_add_co_i32 s2, s16, -1
	s_mov_b32 s3, 0
	v_mov_b64_e32 v[4:5], 0
	v_mov_b64_e32 v[8:9], v[0:1]
	s_lshl_b64 s[18:19], s[2:3], 3
	s_mov_b64 s[14:15], 0xffffffff
	s_add_nc_u64 s[18:19], s[8:9], s[18:19]
	s_add_co_i32 s25, s16, 1
	s_add_nc_u64 s[16:17], s[18:19], 8
.LBB9_3:                                ; =>This Inner Loop Header: Depth=1
	s_load_b64 s[18:19], s[16:17], 0x0
                                        ; implicit-def: $vgpr10_vgpr11
	s_mov_b32 s2, exec_lo
	s_wait_kmcnt 0x0
	s_delay_alu instid0(VALU_DEP_1) | instskip(NEXT) | instid1(VALU_DEP_1)
	v_or_b32_e32 v7, s19, v9
	v_cmpx_ne_u64_e32 0, v[6:7]
	s_xor_b32 s26, exec_lo, s2
	s_cbranch_execz .LBB9_5
; %bb.4:                                ;   in Loop: Header=BB9_3 Depth=1
	s_ashr_i32 s20, s19, 31
	v_dual_mov_b32 v15, v6 :: v_dual_ashrrev_i32 v10, 31, v9
	s_mov_b32 s21, s20
	v_mov_b32_e32 v23, v6
	s_add_nc_u64 s[22:23], s[18:19], s[20:21]
	s_delay_alu instid0(VALU_DEP_2) | instskip(SKIP_1) | instid1(SALU_CYCLE_1)
	v_mov_b32_e32 v11, v10
	s_xor_b64 s[22:23], s[22:23], s[20:21]
	s_cvt_f32_u32 s2, s22
	s_cvt_f32_u32 s21, s23
	s_sub_nc_u64 s[30:31], 0, s[22:23]
	v_add_nc_u64_e32 v[12:13], v[8:9], v[10:11]
	v_mov_b32_e32 v19, v6
	s_fmamk_f32 s2, s21, 0x4f800000, s2
	s_delay_alu instid0(SALU_CYCLE_3) | instskip(NEXT) | instid1(VALU_DEP_2)
	v_s_rcp_f32 s2, s2
	v_xor_b32_e32 v14, v12, v10
	s_delay_alu instid0(VALU_DEP_3) | instskip(NEXT) | instid1(TRANS32_DEP_1)
	v_xor_b32_e32 v18, v13, v10
	s_mul_f32 s2, s2, 0x5f7ffffc
	s_delay_alu instid0(SALU_CYCLE_3) | instskip(NEXT) | instid1(SALU_CYCLE_3)
	s_mul_f32 s21, s2, 0x2f800000
	s_trunc_f32 s21, s21
	s_delay_alu instid0(SALU_CYCLE_3) | instskip(SKIP_1) | instid1(SALU_CYCLE_2)
	s_fmamk_f32 s2, s21, 0xcf800000, s2
	s_cvt_u32_f32 s29, s21
	s_cvt_u32_f32 s28, s2
	s_delay_alu instid0(SALU_CYCLE_3) | instskip(NEXT) | instid1(SALU_CYCLE_1)
	s_mul_u64 s[34:35], s[30:31], s[28:29]
	s_mul_hi_u32 s37, s28, s35
	s_mul_i32 s36, s28, s35
	s_mul_hi_u32 s2, s28, s34
	s_mul_i32 s27, s29, s34
	s_add_nc_u64 s[36:37], s[2:3], s[36:37]
	s_mul_hi_u32 s21, s29, s34
	s_mul_hi_u32 s33, s29, s35
	s_add_co_u32 s2, s36, s27
	s_add_co_ci_u32 s2, s37, s21
	s_mul_i32 s34, s29, s35
	s_add_co_ci_u32 s35, s33, 0
	s_delay_alu instid0(SALU_CYCLE_1) | instskip(NEXT) | instid1(SALU_CYCLE_1)
	s_add_nc_u64 s[34:35], s[2:3], s[34:35]
	s_add_co_u32 s28, s28, s34
	s_cselect_b32 s2, -1, 0
	s_delay_alu instid0(SALU_CYCLE_1) | instskip(SKIP_1) | instid1(SALU_CYCLE_1)
	s_cmp_lg_u32 s2, 0
	s_add_co_ci_u32 s29, s29, s35
	s_mul_u64 s[30:31], s[30:31], s[28:29]
	s_delay_alu instid0(SALU_CYCLE_1)
	s_mul_hi_u32 s35, s28, s31
	s_mul_i32 s34, s28, s31
	s_mul_hi_u32 s2, s28, s30
	s_mul_i32 s27, s29, s30
	s_add_nc_u64 s[34:35], s[2:3], s[34:35]
	s_mul_hi_u32 s21, s29, s30
	s_mul_hi_u32 s33, s29, s31
	s_add_co_u32 s2, s34, s27
	s_add_co_ci_u32 s2, s35, s21
	s_mul_i32 s30, s29, s31
	s_add_co_ci_u32 s31, s33, 0
	s_delay_alu instid0(SALU_CYCLE_1) | instskip(NEXT) | instid1(SALU_CYCLE_1)
	s_add_nc_u64 s[30:31], s[2:3], s[30:31]
	s_add_co_u32 s28, s28, s30
	s_cselect_b32 s2, -1, 0
	v_mul_hi_u32 v22, v14, s28
	s_cmp_lg_u32 s2, 0
	s_add_co_ci_u32 s2, s29, s31
	s_and_b64 s[30:31], s[28:29], s[14:15]
	v_mul_u64_e32 v[16:17], s[2:3], v[14:15]
	v_mul_u64_e32 v[12:13], s[30:31], v[18:19]
	;; [unrolled: 1-line block ×3, first 2 shown]
	s_delay_alu instid0(VALU_DEP_3) | instskip(NEXT) | instid1(VALU_DEP_1)
	v_add_nc_u64_e32 v[16:17], v[22:23], v[16:17]
	v_add_co_u32 v7, vcc_lo, v16, v12
	s_delay_alu instid0(VALU_DEP_2) | instskip(NEXT) | instid1(VALU_DEP_4)
	v_add_co_ci_u32_e32 v22, vcc_lo, v17, v13, vcc_lo
	v_add_co_ci_u32_e32 v21, vcc_lo, 0, v21, vcc_lo
	s_delay_alu instid0(VALU_DEP_1) | instskip(NEXT) | instid1(VALU_DEP_1)
	v_add_nc_u64_e32 v[12:13], v[22:23], v[20:21]
	v_mul_u64_e32 v[16:17], s[22:23], v[12:13]
	s_delay_alu instid0(VALU_DEP_1) | instskip(NEXT) | instid1(VALU_DEP_2)
	v_sub_nc_u32_e32 v7, v18, v17
	v_sub_co_u32 v11, vcc_lo, v14, v16
	s_delay_alu instid0(VALU_DEP_1) | instskip(NEXT) | instid1(VALU_DEP_3)
	v_sub_co_ci_u32_e64 v18, null, v18, v17, vcc_lo
	v_subrev_co_ci_u32_e64 v7, null, s23, v7, vcc_lo
	s_delay_alu instid0(VALU_DEP_3) | instskip(SKIP_1) | instid1(VALU_DEP_3)
	v_sub_co_u32 v14, s2, v11, s22
	v_add_nc_u64_e32 v[16:17], 1, v[12:13]
	v_subrev_co_ci_u32_e64 v7, null, 0, v7, s2
	s_delay_alu instid0(VALU_DEP_3) | instskip(SKIP_1) | instid1(VALU_DEP_3)
	v_cmp_le_u32_e32 vcc_lo, s22, v14
	v_cndmask_b32_e64 v14, 0, -1, vcc_lo
	v_cmp_le_u32_e32 vcc_lo, s23, v7
	v_cndmask_b32_e64 v15, 0, -1, vcc_lo
	;; [unrolled: 2-line block ×4, first 2 shown]
	v_cmp_eq_u32_e32 vcc_lo, s23, v7
	v_cndmask_b32_e32 v7, v15, v14, vcc_lo
	v_cmp_eq_u32_e32 vcc_lo, s23, v18
	v_add_nc_u64_e32 v[14:15], 2, v[12:13]
	v_cndmask_b32_e32 v11, v19, v11, vcc_lo
	s_delay_alu instid0(VALU_DEP_4) | instskip(NEXT) | instid1(VALU_DEP_2)
	v_cmp_ne_u32_e32 vcc_lo, 0, v7
	v_cmp_ne_u32_e64 s2, 0, v11
	s_delay_alu instid0(VALU_DEP_4) | instskip(NEXT) | instid1(VALU_DEP_1)
	v_dual_cndmask_b32 v7, v17, v15, vcc_lo :: v_dual_cndmask_b32 v11, v16, v14, vcc_lo
	v_dual_cndmask_b32 v7, v13, v7, s2 :: v_dual_bitop2_b32 v10, s20, v10 bitop3:0x14
	s_delay_alu instid0(VALU_DEP_1) | instskip(NEXT) | instid1(VALU_DEP_2)
	v_dual_cndmask_b32 v12, v12, v11, s2 :: v_dual_mov_b32 v11, v10
	v_xor_b32_e32 v13, v7, v10
	s_delay_alu instid0(VALU_DEP_2) | instskip(NEXT) | instid1(VALU_DEP_1)
	v_xor_b32_e32 v12, v12, v10
	v_sub_nc_u64_e32 v[10:11], v[12:13], v[10:11]
.LBB9_5:                                ;   in Loop: Header=BB9_3 Depth=1
	s_and_not1_saveexec_b32 s2, s26
	s_cbranch_execz .LBB9_7
; %bb.6:                                ;   in Loop: Header=BB9_3 Depth=1
	v_cvt_f32_u32_e32 v7, s18
	s_sub_co_i32 s20, 0, s18
	s_delay_alu instid0(VALU_DEP_1) | instskip(SKIP_1) | instid1(TRANS32_DEP_1)
	v_rcp_iflag_f32_e32 v7, v7
	v_nop
	v_mul_f32_e32 v7, 0x4f7ffffe, v7
	s_delay_alu instid0(VALU_DEP_1) | instskip(NEXT) | instid1(VALU_DEP_1)
	v_cvt_u32_f32_e32 v7, v7
	v_mul_lo_u32 v10, s20, v7
	s_delay_alu instid0(VALU_DEP_1) | instskip(NEXT) | instid1(VALU_DEP_1)
	v_mul_hi_u32 v10, v7, v10
	v_add_nc_u32_e32 v7, v7, v10
	s_delay_alu instid0(VALU_DEP_1) | instskip(NEXT) | instid1(VALU_DEP_1)
	v_mul_hi_u32 v7, v8, v7
	v_mul_lo_u32 v10, v7, s18
	s_delay_alu instid0(VALU_DEP_1) | instskip(NEXT) | instid1(VALU_DEP_1)
	v_dual_add_nc_u32 v11, 1, v7 :: v_dual_sub_nc_u32 v10, v8, v10
	v_subrev_nc_u32_e32 v12, s18, v10
	v_cmp_le_u32_e32 vcc_lo, s18, v10
	s_delay_alu instid0(VALU_DEP_2) | instskip(NEXT) | instid1(VALU_DEP_1)
	v_dual_cndmask_b32 v10, v10, v12 :: v_dual_cndmask_b32 v7, v7, v11
	v_cmp_le_u32_e32 vcc_lo, s18, v10
	s_delay_alu instid0(VALU_DEP_2) | instskip(NEXT) | instid1(VALU_DEP_1)
	v_add_nc_u32_e32 v11, 1, v7
	v_dual_cndmask_b32 v10, v7, v11 :: v_dual_mov_b32 v11, v6
.LBB9_7:                                ;   in Loop: Header=BB9_3 Depth=1
	s_or_b32 exec_lo, exec_lo, s2
	s_delay_alu instid0(VALU_DEP_1)
	v_mul_u64_e32 v[12:13], s[18:19], v[10:11]
	s_load_b64 s[18:19], s[16:17], 0xc8
	s_add_co_i32 s25, s25, -1
	s_wait_xcnt 0x0
	s_add_nc_u64 s[16:17], s[16:17], -8
	s_cmp_gt_u32 s25, 2
	s_delay_alu instid0(VALU_DEP_1) | instskip(SKIP_1) | instid1(VALU_DEP_1)
	v_sub_nc_u64_e32 v[8:9], v[8:9], v[12:13]
	s_wait_kmcnt 0x0
	v_mad_nc_u64_u32 v[4:5], s18, v8, v[4:5]
	s_delay_alu instid0(VALU_DEP_1) | instskip(NEXT) | instid1(VALU_DEP_1)
	v_mad_u32 v5, s19, v8, v5
	v_mad_u32 v5, s18, v9, v5
	s_cbranch_scc0 .LBB9_10
; %bb.8:                                ;   in Loop: Header=BB9_3 Depth=1
	v_mov_b64_e32 v[8:9], v[10:11]
	s_branch .LBB9_3
.LBB9_9:
	v_mov_b64_e32 v[10:11], v[0:1]
.LBB9_10:
	v_mul_u64_e32 v[8:9], s[12:13], v[2:3]
	v_mul_u64_e32 v[6:7], s[10:11], v[2:3]
	s_clause 0x2
	s_load_b64 s[10:11], s[0:1], 0x1a8
	s_load_b32 s3, s[8:9], 0xd0
	s_load_b64 s[12:13], s[8:9], 0x0
	s_ashr_i32 s2, s24, 31
	s_wait_xcnt 0x0
	s_load_b64 s[0:1], s[0:1], 0x0
	s_wait_kmcnt 0x0
	v_mad_u32 v5, s3, v10, v4
	s_ashr_i32 s3, s5, 31
	s_delay_alu instid0(VALU_DEP_3) | instskip(SKIP_1) | instid1(VALU_DEP_4)
	v_mul_lo_u32 v3, v9, s4
	v_mov_b32_e32 v4, 0
	v_mul_lo_u32 v7, v7, s7
	s_delay_alu instid0(VALU_DEP_3) | instskip(NEXT) | instid1(VALU_DEP_3)
	v_sub_nc_u32_e32 v3, v2, v3
	v_ashrrev_i64 v[4:5], 29, v[4:5]
	s_delay_alu instid0(VALU_DEP_3) | instskip(NEXT) | instid1(VALU_DEP_3)
	v_sub_nc_u32_e32 v7, v2, v7
	v_subrev_nc_u32_e32 v8, s4, v3
	v_cmp_le_u32_e32 vcc_lo, s4, v3
	v_add_nc_u32_e32 v6, 1, v9
	v_add_nc_u64_e32 v[4:5], s[12:13], v[4:5]
	s_delay_alu instid0(VALU_DEP_2)
	v_dual_cndmask_b32 v3, v3, v8 :: v_dual_cndmask_b32 v6, v9, v6
	v_xor_b32_e32 v9, s2, v1
	s_mov_b32 s2, s5
	global_load_b64 v[4:5], v[4:5], off
	v_cmp_le_u32_e32 vcc_lo, s4, v3
	v_add_nc_u32_e32 v8, 1, v6
	s_delay_alu instid0(VALU_DEP_1)
	v_cndmask_b32_e32 v6, v6, v8, vcc_lo
	v_cmp_le_u32_e32 vcc_lo, s7, v7
	s_wait_loadcnt 0x0
	v_mul_u64_e32 v[2:3], s[2:3], v[4:5]
	v_subrev_nc_u32_e32 v5, s7, v7
	s_mul_i32 s2, s6, s5
	s_delay_alu instid0(VALU_DEP_1) | instskip(NEXT) | instid1(VALU_DEP_1)
	v_cndmask_b32_e32 v5, v7, v5, vcc_lo
	v_cmp_le_u32_e32 vcc_lo, s7, v5
	v_xor_b32_e32 v4, v6, v9
	v_subrev_nc_u32_e32 v6, s7, v5
	s_delay_alu instid0(VALU_DEP_1) | instskip(NEXT) | instid1(VALU_DEP_1)
	v_dual_cndmask_b32 v6, v5, v6, vcc_lo :: v_dual_sub_nc_u32 v4, v4, v9
	v_xor_b32_e32 v6, v6, v1
	s_delay_alu instid0(VALU_DEP_2) | instskip(NEXT) | instid1(VALU_DEP_2)
	v_mul_lo_u32 v4, s2, v4
	v_sub_nc_u32_e32 v6, v6, v1
	v_lshl_add_u64 v[0:1], v[0:1], 3, s[0:1]
	s_mov_b32 s0, 0
	s_delay_alu instid0(VALU_DEP_2) | instskip(NEXT) | instid1(VALU_DEP_1)
	v_dual_ashrrev_i32 v7, 31, v6 :: v_dual_ashrrev_i32 v5, 31, v4
	v_lshl_add_u64 v[4:5], v[4:5], 3, s[10:11]
	s_delay_alu instid0(VALU_DEP_1) | instskip(NEXT) | instid1(VALU_DEP_1)
	v_lshl_add_u64 v[2:3], v[2:3], 3, v[4:5]
	v_lshl_add_u64 v[4:5], v[6:7], 3, v[2:3]
	global_load_b64 v[6:7], v[0:1], off
	global_load_b64 v[2:3], v[4:5], off scope:SCOPE_SYS
.LBB9_11:                               ; =>This Inner Loop Header: Depth=1
	s_wait_loadcnt 0x0
	s_delay_alu instid0(VALU_DEP_1)
	v_max_i64 v[0:1], v[2:3], v[6:7]
	global_atomic_cmpswap_b64 v[0:1], v[4:5], v[0:3], off th:TH_ATOMIC_RETURN scope:SCOPE_DEV
	s_wait_loadcnt 0x0
	v_cmp_eq_u64_e32 vcc_lo, v[2:3], v[0:1]
	v_mov_b64_e32 v[2:3], v[0:1]
	s_or_b32 s0, vcc_lo, s0
	s_delay_alu instid0(SALU_CYCLE_1)
	s_and_not1_b32 exec_lo, exec_lo, s0
	s_cbranch_execnz .LBB9_11
.LBB9_12:
	s_endpgm
	.section	.rodata,"a",@progbits
	.p2align	6, 0x0
	.amdhsa_kernel _Z14scatter_kernelIlL13ReductionType4EEvPKT_10TensorInfoIllEPS1_iiii
		.amdhsa_group_segment_fixed_size 0
		.amdhsa_private_segment_fixed_size 0
		.amdhsa_kernarg_size 704
		.amdhsa_user_sgpr_count 2
		.amdhsa_user_sgpr_dispatch_ptr 0
		.amdhsa_user_sgpr_queue_ptr 0
		.amdhsa_user_sgpr_kernarg_segment_ptr 1
		.amdhsa_user_sgpr_dispatch_id 0
		.amdhsa_user_sgpr_kernarg_preload_length 0
		.amdhsa_user_sgpr_kernarg_preload_offset 0
		.amdhsa_user_sgpr_private_segment_size 0
		.amdhsa_wavefront_size32 1
		.amdhsa_uses_dynamic_stack 0
		.amdhsa_enable_private_segment 0
		.amdhsa_system_sgpr_workgroup_id_x 1
		.amdhsa_system_sgpr_workgroup_id_y 0
		.amdhsa_system_sgpr_workgroup_id_z 0
		.amdhsa_system_sgpr_workgroup_info 0
		.amdhsa_system_vgpr_workitem_id 0
		.amdhsa_next_free_vgpr 24
		.amdhsa_next_free_sgpr 38
		.amdhsa_named_barrier_count 0
		.amdhsa_reserve_vcc 1
		.amdhsa_float_round_mode_32 0
		.amdhsa_float_round_mode_16_64 0
		.amdhsa_float_denorm_mode_32 3
		.amdhsa_float_denorm_mode_16_64 3
		.amdhsa_fp16_overflow 0
		.amdhsa_memory_ordered 1
		.amdhsa_forward_progress 1
		.amdhsa_inst_pref_size 12
		.amdhsa_round_robin_scheduling 0
		.amdhsa_exception_fp_ieee_invalid_op 0
		.amdhsa_exception_fp_denorm_src 0
		.amdhsa_exception_fp_ieee_div_zero 0
		.amdhsa_exception_fp_ieee_overflow 0
		.amdhsa_exception_fp_ieee_underflow 0
		.amdhsa_exception_fp_ieee_inexact 0
		.amdhsa_exception_int_div_zero 0
	.end_amdhsa_kernel
	.section	.text._Z14scatter_kernelIlL13ReductionType4EEvPKT_10TensorInfoIllEPS1_iiii,"axG",@progbits,_Z14scatter_kernelIlL13ReductionType4EEvPKT_10TensorInfoIllEPS1_iiii,comdat
.Lfunc_end9:
	.size	_Z14scatter_kernelIlL13ReductionType4EEvPKT_10TensorInfoIllEPS1_iiii, .Lfunc_end9-_Z14scatter_kernelIlL13ReductionType4EEvPKT_10TensorInfoIllEPS1_iiii
                                        ; -- End function
	.set _Z14scatter_kernelIlL13ReductionType4EEvPKT_10TensorInfoIllEPS1_iiii.num_vgpr, 24
	.set _Z14scatter_kernelIlL13ReductionType4EEvPKT_10TensorInfoIllEPS1_iiii.num_agpr, 0
	.set _Z14scatter_kernelIlL13ReductionType4EEvPKT_10TensorInfoIllEPS1_iiii.numbered_sgpr, 38
	.set _Z14scatter_kernelIlL13ReductionType4EEvPKT_10TensorInfoIllEPS1_iiii.num_named_barrier, 0
	.set _Z14scatter_kernelIlL13ReductionType4EEvPKT_10TensorInfoIllEPS1_iiii.private_seg_size, 0
	.set _Z14scatter_kernelIlL13ReductionType4EEvPKT_10TensorInfoIllEPS1_iiii.uses_vcc, 1
	.set _Z14scatter_kernelIlL13ReductionType4EEvPKT_10TensorInfoIllEPS1_iiii.uses_flat_scratch, 0
	.set _Z14scatter_kernelIlL13ReductionType4EEvPKT_10TensorInfoIllEPS1_iiii.has_dyn_sized_stack, 0
	.set _Z14scatter_kernelIlL13ReductionType4EEvPKT_10TensorInfoIllEPS1_iiii.has_recursion, 0
	.set _Z14scatter_kernelIlL13ReductionType4EEvPKT_10TensorInfoIllEPS1_iiii.has_indirect_call, 0
	.section	.AMDGPU.csdata,"",@progbits
; Kernel info:
; codeLenInByte = 1528
; TotalNumSgprs: 40
; NumVgprs: 24
; ScratchSize: 0
; MemoryBound: 0
; FloatMode: 240
; IeeeMode: 1
; LDSByteSize: 0 bytes/workgroup (compile time only)
; SGPRBlocks: 0
; VGPRBlocks: 1
; NumSGPRsForWavesPerEU: 40
; NumVGPRsForWavesPerEU: 24
; NamedBarCnt: 0
; Occupancy: 16
; WaveLimiterHint : 1
; COMPUTE_PGM_RSRC2:SCRATCH_EN: 0
; COMPUTE_PGM_RSRC2:USER_SGPR: 2
; COMPUTE_PGM_RSRC2:TRAP_HANDLER: 0
; COMPUTE_PGM_RSRC2:TGID_X_EN: 1
; COMPUTE_PGM_RSRC2:TGID_Y_EN: 0
; COMPUTE_PGM_RSRC2:TGID_Z_EN: 0
; COMPUTE_PGM_RSRC2:TIDIG_COMP_CNT: 0
	.section	.text._Z14scatter_kernelIfL13ReductionType1EEvPKT_10TensorInfoIllEPS1_iiii,"axG",@progbits,_Z14scatter_kernelIfL13ReductionType1EEvPKT_10TensorInfoIllEPS1_iiii,comdat
	.protected	_Z14scatter_kernelIfL13ReductionType1EEvPKT_10TensorInfoIllEPS1_iiii ; -- Begin function _Z14scatter_kernelIfL13ReductionType1EEvPKT_10TensorInfoIllEPS1_iiii
	.globl	_Z14scatter_kernelIfL13ReductionType1EEvPKT_10TensorInfoIllEPS1_iiii
	.p2align	8
	.type	_Z14scatter_kernelIfL13ReductionType1EEvPKT_10TensorInfoIllEPS1_iiii,@function
_Z14scatter_kernelIfL13ReductionType1EEvPKT_10TensorInfoIllEPS1_iiii: ; @_Z14scatter_kernelIfL13ReductionType1EEvPKT_10TensorInfoIllEPS1_iiii
; %bb.0:
	s_clause 0x1
	s_load_b32 s2, s[0:1], 0x1cc
	s_load_b128 s[4:7], s[0:1], 0x1b0
	s_bfe_u32 s3, ttmp6, 0x4000c
	s_and_b32 s8, ttmp6, 15
	s_add_co_i32 s3, s3, 1
	s_getreg_b32 s9, hwreg(HW_REG_IB_STS2, 6, 4)
	s_mul_i32 s3, ttmp9, s3
	s_mov_b32 s11, 0
	s_add_co_i32 s8, s8, s3
	s_wait_kmcnt 0x0
	s_and_b32 s2, s2, 0xffff
	s_cmp_eq_u32 s9, 0
	s_cselect_b32 s3, ttmp9, s8
	s_delay_alu instid0(SALU_CYCLE_1) | instskip(SKIP_1) | instid1(VALU_DEP_1)
	v_mad_u32 v0, s3, s2, v0
	s_mov_b32 s2, exec_lo
	v_cmpx_gt_i32_e64 s7, v0
	s_cbranch_execz .LBB10_12
; %bb.1:
	s_abs_i32 s7, s5
	s_mul_i32 s24, s5, s4
	s_cvt_f32_u32 s2, s7
	s_abs_i32 s4, s24
	s_load_b32 s16, s[0:1], 0x1a0
	s_cvt_f32_u32 s3, s4
	v_rcp_iflag_f32_e32 v1, s2
	s_sub_co_i32 s10, 0, s7
	s_sub_co_i32 s12, 0, s4
	v_rcp_iflag_f32_e32 v2, s3
	v_mov_b64_e32 v[4:5], 0
	s_add_nc_u64 s[8:9], s[0:1], 8
	s_mov_b32 s13, s11
	v_readfirstlane_b32 s2, v1
	v_dual_mov_b32 v6, 0 :: v_dual_sub_nc_u32 v1, 0, v0
	s_delay_alu instid0(TRANS32_DEP_1) | instskip(SKIP_3) | instid1(SALU_CYCLE_1)
	v_readfirstlane_b32 s3, v2
	s_mul_f32 s2, s2, 0x4f7ffffe
	v_dual_mov_b32 v3, v6 :: v_dual_max_i32 v2, v0, v1
	s_mul_f32 s3, s3, 0x4f7ffffe
	s_cvt_u32_f32 s2, s2
	v_ashrrev_i32_e32 v1, 31, v0
	s_delay_alu instid0(SALU_CYCLE_1) | instskip(NEXT) | instid1(SALU_CYCLE_1)
	s_cvt_u32_f32 s3, s3
	s_mul_i32 s10, s10, s2
	s_delay_alu instid0(SALU_CYCLE_1) | instskip(NEXT) | instid1(SALU_CYCLE_1)
	s_mul_hi_u32 s10, s2, s10
	s_mul_i32 s12, s12, s3
	s_add_co_i32 s10, s2, s10
	s_mul_hi_u32 s2, s3, s12
	s_delay_alu instid0(SALU_CYCLE_1)
	s_add_co_i32 s12, s3, s2
	s_wait_kmcnt 0x0
	s_cmp_lt_i32 s16, 2
	s_cbranch_scc1 .LBB10_9
; %bb.2:
	s_add_co_i32 s2, s16, -1
	s_mov_b32 s3, 0
	v_mov_b64_e32 v[4:5], 0
	v_mov_b64_e32 v[8:9], v[0:1]
	s_lshl_b64 s[18:19], s[2:3], 3
	s_mov_b64 s[14:15], 0xffffffff
	s_add_nc_u64 s[18:19], s[8:9], s[18:19]
	s_add_co_i32 s25, s16, 1
	s_add_nc_u64 s[16:17], s[18:19], 8
.LBB10_3:                               ; =>This Inner Loop Header: Depth=1
	s_load_b64 s[18:19], s[16:17], 0x0
                                        ; implicit-def: $vgpr10_vgpr11
	s_mov_b32 s2, exec_lo
	s_wait_kmcnt 0x0
	s_delay_alu instid0(VALU_DEP_1) | instskip(NEXT) | instid1(VALU_DEP_1)
	v_or_b32_e32 v7, s19, v9
	v_cmpx_ne_u64_e32 0, v[6:7]
	s_xor_b32 s26, exec_lo, s2
	s_cbranch_execz .LBB10_5
; %bb.4:                                ;   in Loop: Header=BB10_3 Depth=1
	s_ashr_i32 s20, s19, 31
	v_dual_mov_b32 v15, v6 :: v_dual_ashrrev_i32 v10, 31, v9
	s_mov_b32 s21, s20
	v_mov_b32_e32 v23, v6
	s_add_nc_u64 s[22:23], s[18:19], s[20:21]
	s_delay_alu instid0(VALU_DEP_2) | instskip(SKIP_1) | instid1(SALU_CYCLE_1)
	v_mov_b32_e32 v11, v10
	s_xor_b64 s[22:23], s[22:23], s[20:21]
	s_cvt_f32_u32 s2, s22
	s_cvt_f32_u32 s21, s23
	s_sub_nc_u64 s[30:31], 0, s[22:23]
	v_add_nc_u64_e32 v[12:13], v[8:9], v[10:11]
	v_mov_b32_e32 v19, v6
	s_fmamk_f32 s2, s21, 0x4f800000, s2
	s_delay_alu instid0(SALU_CYCLE_3) | instskip(NEXT) | instid1(VALU_DEP_2)
	v_s_rcp_f32 s2, s2
	v_xor_b32_e32 v14, v12, v10
	s_delay_alu instid0(VALU_DEP_3) | instskip(NEXT) | instid1(TRANS32_DEP_1)
	v_xor_b32_e32 v18, v13, v10
	s_mul_f32 s2, s2, 0x5f7ffffc
	s_delay_alu instid0(SALU_CYCLE_3) | instskip(NEXT) | instid1(SALU_CYCLE_3)
	s_mul_f32 s21, s2, 0x2f800000
	s_trunc_f32 s21, s21
	s_delay_alu instid0(SALU_CYCLE_3) | instskip(SKIP_1) | instid1(SALU_CYCLE_2)
	s_fmamk_f32 s2, s21, 0xcf800000, s2
	s_cvt_u32_f32 s29, s21
	s_cvt_u32_f32 s28, s2
	s_delay_alu instid0(SALU_CYCLE_3) | instskip(NEXT) | instid1(SALU_CYCLE_1)
	s_mul_u64 s[34:35], s[30:31], s[28:29]
	s_mul_hi_u32 s37, s28, s35
	s_mul_i32 s36, s28, s35
	s_mul_hi_u32 s2, s28, s34
	s_mul_i32 s27, s29, s34
	s_add_nc_u64 s[36:37], s[2:3], s[36:37]
	s_mul_hi_u32 s21, s29, s34
	s_mul_hi_u32 s33, s29, s35
	s_add_co_u32 s2, s36, s27
	s_add_co_ci_u32 s2, s37, s21
	s_mul_i32 s34, s29, s35
	s_add_co_ci_u32 s35, s33, 0
	s_delay_alu instid0(SALU_CYCLE_1) | instskip(NEXT) | instid1(SALU_CYCLE_1)
	s_add_nc_u64 s[34:35], s[2:3], s[34:35]
	s_add_co_u32 s28, s28, s34
	s_cselect_b32 s2, -1, 0
	s_delay_alu instid0(SALU_CYCLE_1) | instskip(SKIP_1) | instid1(SALU_CYCLE_1)
	s_cmp_lg_u32 s2, 0
	s_add_co_ci_u32 s29, s29, s35
	s_mul_u64 s[30:31], s[30:31], s[28:29]
	s_delay_alu instid0(SALU_CYCLE_1)
	s_mul_hi_u32 s35, s28, s31
	s_mul_i32 s34, s28, s31
	s_mul_hi_u32 s2, s28, s30
	s_mul_i32 s27, s29, s30
	s_add_nc_u64 s[34:35], s[2:3], s[34:35]
	s_mul_hi_u32 s21, s29, s30
	s_mul_hi_u32 s33, s29, s31
	s_add_co_u32 s2, s34, s27
	s_add_co_ci_u32 s2, s35, s21
	s_mul_i32 s30, s29, s31
	s_add_co_ci_u32 s31, s33, 0
	s_delay_alu instid0(SALU_CYCLE_1) | instskip(NEXT) | instid1(SALU_CYCLE_1)
	s_add_nc_u64 s[30:31], s[2:3], s[30:31]
	s_add_co_u32 s28, s28, s30
	s_cselect_b32 s2, -1, 0
	v_mul_hi_u32 v22, v14, s28
	s_cmp_lg_u32 s2, 0
	s_add_co_ci_u32 s2, s29, s31
	s_and_b64 s[30:31], s[28:29], s[14:15]
	v_mul_u64_e32 v[16:17], s[2:3], v[14:15]
	v_mul_u64_e32 v[12:13], s[30:31], v[18:19]
	;; [unrolled: 1-line block ×3, first 2 shown]
	s_delay_alu instid0(VALU_DEP_3) | instskip(NEXT) | instid1(VALU_DEP_1)
	v_add_nc_u64_e32 v[16:17], v[22:23], v[16:17]
	v_add_co_u32 v7, vcc_lo, v16, v12
	s_delay_alu instid0(VALU_DEP_2) | instskip(NEXT) | instid1(VALU_DEP_4)
	v_add_co_ci_u32_e32 v22, vcc_lo, v17, v13, vcc_lo
	v_add_co_ci_u32_e32 v21, vcc_lo, 0, v21, vcc_lo
	s_delay_alu instid0(VALU_DEP_1) | instskip(NEXT) | instid1(VALU_DEP_1)
	v_add_nc_u64_e32 v[12:13], v[22:23], v[20:21]
	v_mul_u64_e32 v[16:17], s[22:23], v[12:13]
	s_delay_alu instid0(VALU_DEP_1) | instskip(NEXT) | instid1(VALU_DEP_2)
	v_sub_nc_u32_e32 v7, v18, v17
	v_sub_co_u32 v11, vcc_lo, v14, v16
	s_delay_alu instid0(VALU_DEP_1) | instskip(NEXT) | instid1(VALU_DEP_3)
	v_sub_co_ci_u32_e64 v18, null, v18, v17, vcc_lo
	v_subrev_co_ci_u32_e64 v7, null, s23, v7, vcc_lo
	s_delay_alu instid0(VALU_DEP_3) | instskip(SKIP_1) | instid1(VALU_DEP_3)
	v_sub_co_u32 v14, s2, v11, s22
	v_add_nc_u64_e32 v[16:17], 1, v[12:13]
	v_subrev_co_ci_u32_e64 v7, null, 0, v7, s2
	s_delay_alu instid0(VALU_DEP_3) | instskip(SKIP_1) | instid1(VALU_DEP_3)
	v_cmp_le_u32_e32 vcc_lo, s22, v14
	v_cndmask_b32_e64 v14, 0, -1, vcc_lo
	v_cmp_le_u32_e32 vcc_lo, s23, v7
	v_cndmask_b32_e64 v15, 0, -1, vcc_lo
	;; [unrolled: 2-line block ×4, first 2 shown]
	v_cmp_eq_u32_e32 vcc_lo, s23, v7
	v_cndmask_b32_e32 v7, v15, v14, vcc_lo
	v_cmp_eq_u32_e32 vcc_lo, s23, v18
	v_add_nc_u64_e32 v[14:15], 2, v[12:13]
	v_cndmask_b32_e32 v11, v19, v11, vcc_lo
	s_delay_alu instid0(VALU_DEP_4) | instskip(NEXT) | instid1(VALU_DEP_2)
	v_cmp_ne_u32_e32 vcc_lo, 0, v7
	v_cmp_ne_u32_e64 s2, 0, v11
	s_delay_alu instid0(VALU_DEP_4) | instskip(NEXT) | instid1(VALU_DEP_1)
	v_dual_cndmask_b32 v7, v17, v15, vcc_lo :: v_dual_cndmask_b32 v11, v16, v14, vcc_lo
	v_dual_cndmask_b32 v7, v13, v7, s2 :: v_dual_bitop2_b32 v10, s20, v10 bitop3:0x14
	s_delay_alu instid0(VALU_DEP_1) | instskip(NEXT) | instid1(VALU_DEP_2)
	v_dual_cndmask_b32 v12, v12, v11, s2 :: v_dual_mov_b32 v11, v10
	v_xor_b32_e32 v13, v7, v10
	s_delay_alu instid0(VALU_DEP_2) | instskip(NEXT) | instid1(VALU_DEP_1)
	v_xor_b32_e32 v12, v12, v10
	v_sub_nc_u64_e32 v[10:11], v[12:13], v[10:11]
.LBB10_5:                               ;   in Loop: Header=BB10_3 Depth=1
	s_and_not1_saveexec_b32 s2, s26
	s_cbranch_execz .LBB10_7
; %bb.6:                                ;   in Loop: Header=BB10_3 Depth=1
	v_cvt_f32_u32_e32 v7, s18
	s_sub_co_i32 s20, 0, s18
	s_delay_alu instid0(VALU_DEP_1) | instskip(SKIP_1) | instid1(TRANS32_DEP_1)
	v_rcp_iflag_f32_e32 v7, v7
	v_nop
	v_mul_f32_e32 v7, 0x4f7ffffe, v7
	s_delay_alu instid0(VALU_DEP_1) | instskip(NEXT) | instid1(VALU_DEP_1)
	v_cvt_u32_f32_e32 v7, v7
	v_mul_lo_u32 v10, s20, v7
	s_delay_alu instid0(VALU_DEP_1) | instskip(NEXT) | instid1(VALU_DEP_1)
	v_mul_hi_u32 v10, v7, v10
	v_add_nc_u32_e32 v7, v7, v10
	s_delay_alu instid0(VALU_DEP_1) | instskip(NEXT) | instid1(VALU_DEP_1)
	v_mul_hi_u32 v7, v8, v7
	v_mul_lo_u32 v10, v7, s18
	s_delay_alu instid0(VALU_DEP_1) | instskip(NEXT) | instid1(VALU_DEP_1)
	v_dual_add_nc_u32 v11, 1, v7 :: v_dual_sub_nc_u32 v10, v8, v10
	v_subrev_nc_u32_e32 v12, s18, v10
	v_cmp_le_u32_e32 vcc_lo, s18, v10
	s_delay_alu instid0(VALU_DEP_2) | instskip(NEXT) | instid1(VALU_DEP_1)
	v_dual_cndmask_b32 v10, v10, v12 :: v_dual_cndmask_b32 v7, v7, v11
	v_cmp_le_u32_e32 vcc_lo, s18, v10
	s_delay_alu instid0(VALU_DEP_2) | instskip(NEXT) | instid1(VALU_DEP_1)
	v_add_nc_u32_e32 v11, 1, v7
	v_dual_cndmask_b32 v10, v7, v11 :: v_dual_mov_b32 v11, v6
.LBB10_7:                               ;   in Loop: Header=BB10_3 Depth=1
	s_or_b32 exec_lo, exec_lo, s2
	s_delay_alu instid0(VALU_DEP_1)
	v_mul_u64_e32 v[12:13], s[18:19], v[10:11]
	s_load_b64 s[18:19], s[16:17], 0xc8
	s_add_co_i32 s25, s25, -1
	s_wait_xcnt 0x0
	s_add_nc_u64 s[16:17], s[16:17], -8
	s_cmp_gt_u32 s25, 2
	s_delay_alu instid0(VALU_DEP_1) | instskip(SKIP_1) | instid1(VALU_DEP_1)
	v_sub_nc_u64_e32 v[8:9], v[8:9], v[12:13]
	s_wait_kmcnt 0x0
	v_mad_nc_u64_u32 v[4:5], s18, v8, v[4:5]
	s_delay_alu instid0(VALU_DEP_1) | instskip(NEXT) | instid1(VALU_DEP_1)
	v_mad_u32 v5, s19, v8, v5
	v_mad_u32 v5, s18, v9, v5
	s_cbranch_scc0 .LBB10_10
; %bb.8:                                ;   in Loop: Header=BB10_3 Depth=1
	v_mov_b64_e32 v[8:9], v[10:11]
	s_branch .LBB10_3
.LBB10_9:
	v_mov_b64_e32 v[10:11], v[0:1]
.LBB10_10:
	v_mul_u64_e32 v[8:9], s[12:13], v[2:3]
	v_mul_u64_e32 v[6:7], s[10:11], v[2:3]
	s_clause 0x2
	s_load_b64 s[10:11], s[0:1], 0x1a8
	s_load_b32 s3, s[8:9], 0xd0
	s_load_b64 s[12:13], s[8:9], 0x0
	s_ashr_i32 s2, s24, 31
	s_wait_xcnt 0x0
	s_load_b64 s[0:1], s[0:1], 0x0
	s_wait_kmcnt 0x0
	v_mad_u32 v5, s3, v10, v4
	s_ashr_i32 s3, s5, 31
	s_delay_alu instid0(VALU_DEP_3) | instskip(SKIP_1) | instid1(VALU_DEP_4)
	v_mul_lo_u32 v3, v9, s4
	v_mov_b32_e32 v4, 0
	v_mul_lo_u32 v7, v7, s7
	s_delay_alu instid0(VALU_DEP_3) | instskip(NEXT) | instid1(VALU_DEP_3)
	v_sub_nc_u32_e32 v3, v2, v3
	v_ashrrev_i64 v[4:5], 29, v[4:5]
	s_delay_alu instid0(VALU_DEP_3) | instskip(NEXT) | instid1(VALU_DEP_3)
	v_sub_nc_u32_e32 v7, v2, v7
	v_subrev_nc_u32_e32 v8, s4, v3
	v_cmp_le_u32_e32 vcc_lo, s4, v3
	v_add_nc_u32_e32 v6, 1, v9
	v_add_nc_u64_e32 v[4:5], s[12:13], v[4:5]
	s_delay_alu instid0(VALU_DEP_2)
	v_dual_cndmask_b32 v3, v3, v8 :: v_dual_cndmask_b32 v6, v9, v6
	v_xor_b32_e32 v9, s2, v1
	s_mov_b32 s2, s5
	global_load_b64 v[4:5], v[4:5], off
	v_cmp_le_u32_e32 vcc_lo, s4, v3
	v_add_nc_u32_e32 v8, 1, v6
	s_delay_alu instid0(VALU_DEP_1)
	v_cndmask_b32_e32 v6, v6, v8, vcc_lo
	v_cmp_le_u32_e32 vcc_lo, s7, v7
	s_wait_loadcnt 0x0
	v_mul_u64_e32 v[2:3], s[2:3], v[4:5]
	v_subrev_nc_u32_e32 v5, s7, v7
	s_mul_i32 s2, s6, s5
	s_delay_alu instid0(VALU_DEP_1) | instskip(NEXT) | instid1(VALU_DEP_1)
	v_cndmask_b32_e32 v5, v7, v5, vcc_lo
	v_cmp_le_u32_e32 vcc_lo, s7, v5
	v_xor_b32_e32 v4, v6, v9
	v_subrev_nc_u32_e32 v6, s7, v5
	s_delay_alu instid0(VALU_DEP_1) | instskip(SKIP_2) | instid1(VALU_DEP_2)
	v_dual_cndmask_b32 v6, v5, v6, vcc_lo :: v_dual_sub_nc_u32 v4, v4, v9
	v_lshl_add_u64 v[8:9], v[0:1], 2, s[0:1]
	s_mov_b32 s0, 0
	v_xor_b32_e32 v6, v6, v1
	s_delay_alu instid0(VALU_DEP_3) | instskip(NEXT) | instid1(VALU_DEP_2)
	v_mul_lo_u32 v4, s2, v4
	v_sub_nc_u32_e32 v6, v6, v1
	s_delay_alu instid0(VALU_DEP_1) | instskip(NEXT) | instid1(VALU_DEP_1)
	v_dual_ashrrev_i32 v7, 31, v6 :: v_dual_ashrrev_i32 v5, 31, v4
	v_lshl_add_u64 v[4:5], v[4:5], 2, s[10:11]
	s_delay_alu instid0(VALU_DEP_1) | instskip(NEXT) | instid1(VALU_DEP_1)
	v_lshl_add_u64 v[2:3], v[2:3], 2, v[4:5]
	v_lshl_add_u64 v[0:1], v[6:7], 2, v[2:3]
	global_load_b32 v4, v[8:9], off
	global_load_b32 v3, v[0:1], off scope:SCOPE_SYS
.LBB10_11:                              ; =>This Inner Loop Header: Depth=1
	s_wait_loadcnt 0x0
	v_mul_f32_e32 v2, v4, v3
	global_atomic_cmpswap_b32 v2, v[0:1], v[2:3], off th:TH_ATOMIC_RETURN scope:SCOPE_DEV
	s_wait_loadcnt 0x0
	v_cmp_eq_u32_e32 vcc_lo, v3, v2
	v_mov_b32_e32 v3, v2
	s_or_b32 s0, vcc_lo, s0
	s_delay_alu instid0(SALU_CYCLE_1)
	s_and_not1_b32 exec_lo, exec_lo, s0
	s_cbranch_execnz .LBB10_11
.LBB10_12:
	s_endpgm
	.section	.rodata,"a",@progbits
	.p2align	6, 0x0
	.amdhsa_kernel _Z14scatter_kernelIfL13ReductionType1EEvPKT_10TensorInfoIllEPS1_iiii
		.amdhsa_group_segment_fixed_size 0
		.amdhsa_private_segment_fixed_size 0
		.amdhsa_kernarg_size 704
		.amdhsa_user_sgpr_count 2
		.amdhsa_user_sgpr_dispatch_ptr 0
		.amdhsa_user_sgpr_queue_ptr 0
		.amdhsa_user_sgpr_kernarg_segment_ptr 1
		.amdhsa_user_sgpr_dispatch_id 0
		.amdhsa_user_sgpr_kernarg_preload_length 0
		.amdhsa_user_sgpr_kernarg_preload_offset 0
		.amdhsa_user_sgpr_private_segment_size 0
		.amdhsa_wavefront_size32 1
		.amdhsa_uses_dynamic_stack 0
		.amdhsa_enable_private_segment 0
		.amdhsa_system_sgpr_workgroup_id_x 1
		.amdhsa_system_sgpr_workgroup_id_y 0
		.amdhsa_system_sgpr_workgroup_id_z 0
		.amdhsa_system_sgpr_workgroup_info 0
		.amdhsa_system_vgpr_workitem_id 0
		.amdhsa_next_free_vgpr 24
		.amdhsa_next_free_sgpr 38
		.amdhsa_named_barrier_count 0
		.amdhsa_reserve_vcc 1
		.amdhsa_float_round_mode_32 0
		.amdhsa_float_round_mode_16_64 0
		.amdhsa_float_denorm_mode_32 3
		.amdhsa_float_denorm_mode_16_64 3
		.amdhsa_fp16_overflow 0
		.amdhsa_memory_ordered 1
		.amdhsa_forward_progress 1
		.amdhsa_inst_pref_size 12
		.amdhsa_round_robin_scheduling 0
		.amdhsa_exception_fp_ieee_invalid_op 0
		.amdhsa_exception_fp_denorm_src 0
		.amdhsa_exception_fp_ieee_div_zero 0
		.amdhsa_exception_fp_ieee_overflow 0
		.amdhsa_exception_fp_ieee_underflow 0
		.amdhsa_exception_fp_ieee_inexact 0
		.amdhsa_exception_int_div_zero 0
	.end_amdhsa_kernel
	.section	.text._Z14scatter_kernelIfL13ReductionType1EEvPKT_10TensorInfoIllEPS1_iiii,"axG",@progbits,_Z14scatter_kernelIfL13ReductionType1EEvPKT_10TensorInfoIllEPS1_iiii,comdat
.Lfunc_end10:
	.size	_Z14scatter_kernelIfL13ReductionType1EEvPKT_10TensorInfoIllEPS1_iiii, .Lfunc_end10-_Z14scatter_kernelIfL13ReductionType1EEvPKT_10TensorInfoIllEPS1_iiii
                                        ; -- End function
	.set _Z14scatter_kernelIfL13ReductionType1EEvPKT_10TensorInfoIllEPS1_iiii.num_vgpr, 24
	.set _Z14scatter_kernelIfL13ReductionType1EEvPKT_10TensorInfoIllEPS1_iiii.num_agpr, 0
	.set _Z14scatter_kernelIfL13ReductionType1EEvPKT_10TensorInfoIllEPS1_iiii.numbered_sgpr, 38
	.set _Z14scatter_kernelIfL13ReductionType1EEvPKT_10TensorInfoIllEPS1_iiii.num_named_barrier, 0
	.set _Z14scatter_kernelIfL13ReductionType1EEvPKT_10TensorInfoIllEPS1_iiii.private_seg_size, 0
	.set _Z14scatter_kernelIfL13ReductionType1EEvPKT_10TensorInfoIllEPS1_iiii.uses_vcc, 1
	.set _Z14scatter_kernelIfL13ReductionType1EEvPKT_10TensorInfoIllEPS1_iiii.uses_flat_scratch, 0
	.set _Z14scatter_kernelIfL13ReductionType1EEvPKT_10TensorInfoIllEPS1_iiii.has_dyn_sized_stack, 0
	.set _Z14scatter_kernelIfL13ReductionType1EEvPKT_10TensorInfoIllEPS1_iiii.has_recursion, 0
	.set _Z14scatter_kernelIfL13ReductionType1EEvPKT_10TensorInfoIllEPS1_iiii.has_indirect_call, 0
	.section	.AMDGPU.csdata,"",@progbits
; Kernel info:
; codeLenInByte = 1520
; TotalNumSgprs: 40
; NumVgprs: 24
; ScratchSize: 0
; MemoryBound: 0
; FloatMode: 240
; IeeeMode: 1
; LDSByteSize: 0 bytes/workgroup (compile time only)
; SGPRBlocks: 0
; VGPRBlocks: 1
; NumSGPRsForWavesPerEU: 40
; NumVGPRsForWavesPerEU: 24
; NamedBarCnt: 0
; Occupancy: 16
; WaveLimiterHint : 1
; COMPUTE_PGM_RSRC2:SCRATCH_EN: 0
; COMPUTE_PGM_RSRC2:USER_SGPR: 2
; COMPUTE_PGM_RSRC2:TRAP_HANDLER: 0
; COMPUTE_PGM_RSRC2:TGID_X_EN: 1
; COMPUTE_PGM_RSRC2:TGID_Y_EN: 0
; COMPUTE_PGM_RSRC2:TGID_Z_EN: 0
; COMPUTE_PGM_RSRC2:TIDIG_COMP_CNT: 0
	.section	.text._Z14scatter_kernelIfL13ReductionType2EEvPKT_10TensorInfoIllEPS1_iiii,"axG",@progbits,_Z14scatter_kernelIfL13ReductionType2EEvPKT_10TensorInfoIllEPS1_iiii,comdat
	.protected	_Z14scatter_kernelIfL13ReductionType2EEvPKT_10TensorInfoIllEPS1_iiii ; -- Begin function _Z14scatter_kernelIfL13ReductionType2EEvPKT_10TensorInfoIllEPS1_iiii
	.globl	_Z14scatter_kernelIfL13ReductionType2EEvPKT_10TensorInfoIllEPS1_iiii
	.p2align	8
	.type	_Z14scatter_kernelIfL13ReductionType2EEvPKT_10TensorInfoIllEPS1_iiii,@function
_Z14scatter_kernelIfL13ReductionType2EEvPKT_10TensorInfoIllEPS1_iiii: ; @_Z14scatter_kernelIfL13ReductionType2EEvPKT_10TensorInfoIllEPS1_iiii
; %bb.0:
	s_clause 0x1
	s_load_b32 s2, s[0:1], 0x1cc
	s_load_b128 s[4:7], s[0:1], 0x1b0
	s_bfe_u32 s3, ttmp6, 0x4000c
	s_and_b32 s8, ttmp6, 15
	s_add_co_i32 s3, s3, 1
	s_getreg_b32 s9, hwreg(HW_REG_IB_STS2, 6, 4)
	s_mul_i32 s3, ttmp9, s3
	s_mov_b32 s11, 0
	s_add_co_i32 s8, s8, s3
	s_wait_kmcnt 0x0
	s_and_b32 s2, s2, 0xffff
	s_cmp_eq_u32 s9, 0
	s_cselect_b32 s3, ttmp9, s8
	s_delay_alu instid0(SALU_CYCLE_1) | instskip(SKIP_1) | instid1(VALU_DEP_1)
	v_mad_u32 v0, s3, s2, v0
	s_mov_b32 s2, exec_lo
	v_cmpx_gt_i32_e64 s7, v0
	s_cbranch_execz .LBB11_12
; %bb.1:
	s_abs_i32 s7, s5
	s_mul_i32 s24, s5, s4
	s_cvt_f32_u32 s2, s7
	s_abs_i32 s4, s24
	s_load_b32 s16, s[0:1], 0x1a0
	s_cvt_f32_u32 s3, s4
	v_rcp_iflag_f32_e32 v1, s2
	s_sub_co_i32 s10, 0, s7
	s_sub_co_i32 s12, 0, s4
	v_rcp_iflag_f32_e32 v2, s3
	v_mov_b64_e32 v[4:5], 0
	s_add_nc_u64 s[8:9], s[0:1], 8
	s_mov_b32 s13, s11
	v_readfirstlane_b32 s2, v1
	v_dual_mov_b32 v6, 0 :: v_dual_sub_nc_u32 v1, 0, v0
	s_delay_alu instid0(TRANS32_DEP_1) | instskip(SKIP_3) | instid1(SALU_CYCLE_1)
	v_readfirstlane_b32 s3, v2
	s_mul_f32 s2, s2, 0x4f7ffffe
	v_dual_mov_b32 v3, v6 :: v_dual_max_i32 v2, v0, v1
	s_mul_f32 s3, s3, 0x4f7ffffe
	s_cvt_u32_f32 s2, s2
	v_ashrrev_i32_e32 v1, 31, v0
	s_delay_alu instid0(SALU_CYCLE_1) | instskip(NEXT) | instid1(SALU_CYCLE_1)
	s_cvt_u32_f32 s3, s3
	s_mul_i32 s10, s10, s2
	s_delay_alu instid0(SALU_CYCLE_1) | instskip(NEXT) | instid1(SALU_CYCLE_1)
	s_mul_hi_u32 s10, s2, s10
	s_mul_i32 s12, s12, s3
	s_add_co_i32 s10, s2, s10
	s_mul_hi_u32 s2, s3, s12
	s_delay_alu instid0(SALU_CYCLE_1)
	s_add_co_i32 s12, s3, s2
	s_wait_kmcnt 0x0
	s_cmp_lt_i32 s16, 2
	s_cbranch_scc1 .LBB11_9
; %bb.2:
	s_add_co_i32 s2, s16, -1
	s_mov_b32 s3, 0
	v_mov_b64_e32 v[4:5], 0
	v_mov_b64_e32 v[8:9], v[0:1]
	s_lshl_b64 s[18:19], s[2:3], 3
	s_mov_b64 s[14:15], 0xffffffff
	s_add_nc_u64 s[18:19], s[8:9], s[18:19]
	s_add_co_i32 s25, s16, 1
	s_add_nc_u64 s[16:17], s[18:19], 8
.LBB11_3:                               ; =>This Inner Loop Header: Depth=1
	s_load_b64 s[18:19], s[16:17], 0x0
                                        ; implicit-def: $vgpr10_vgpr11
	s_mov_b32 s2, exec_lo
	s_wait_kmcnt 0x0
	s_delay_alu instid0(VALU_DEP_1) | instskip(NEXT) | instid1(VALU_DEP_1)
	v_or_b32_e32 v7, s19, v9
	v_cmpx_ne_u64_e32 0, v[6:7]
	s_xor_b32 s26, exec_lo, s2
	s_cbranch_execz .LBB11_5
; %bb.4:                                ;   in Loop: Header=BB11_3 Depth=1
	s_ashr_i32 s20, s19, 31
	v_dual_mov_b32 v15, v6 :: v_dual_ashrrev_i32 v10, 31, v9
	s_mov_b32 s21, s20
	v_mov_b32_e32 v23, v6
	s_add_nc_u64 s[22:23], s[18:19], s[20:21]
	s_delay_alu instid0(VALU_DEP_2) | instskip(SKIP_1) | instid1(SALU_CYCLE_1)
	v_mov_b32_e32 v11, v10
	s_xor_b64 s[22:23], s[22:23], s[20:21]
	s_cvt_f32_u32 s2, s22
	s_cvt_f32_u32 s21, s23
	s_sub_nc_u64 s[30:31], 0, s[22:23]
	v_add_nc_u64_e32 v[12:13], v[8:9], v[10:11]
	v_mov_b32_e32 v19, v6
	s_fmamk_f32 s2, s21, 0x4f800000, s2
	s_delay_alu instid0(SALU_CYCLE_3) | instskip(NEXT) | instid1(VALU_DEP_2)
	v_s_rcp_f32 s2, s2
	v_xor_b32_e32 v14, v12, v10
	s_delay_alu instid0(VALU_DEP_3) | instskip(NEXT) | instid1(TRANS32_DEP_1)
	v_xor_b32_e32 v18, v13, v10
	s_mul_f32 s2, s2, 0x5f7ffffc
	s_delay_alu instid0(SALU_CYCLE_3) | instskip(NEXT) | instid1(SALU_CYCLE_3)
	s_mul_f32 s21, s2, 0x2f800000
	s_trunc_f32 s21, s21
	s_delay_alu instid0(SALU_CYCLE_3) | instskip(SKIP_1) | instid1(SALU_CYCLE_2)
	s_fmamk_f32 s2, s21, 0xcf800000, s2
	s_cvt_u32_f32 s29, s21
	s_cvt_u32_f32 s28, s2
	s_delay_alu instid0(SALU_CYCLE_3) | instskip(NEXT) | instid1(SALU_CYCLE_1)
	s_mul_u64 s[34:35], s[30:31], s[28:29]
	s_mul_hi_u32 s37, s28, s35
	s_mul_i32 s36, s28, s35
	s_mul_hi_u32 s2, s28, s34
	s_mul_i32 s27, s29, s34
	s_add_nc_u64 s[36:37], s[2:3], s[36:37]
	s_mul_hi_u32 s21, s29, s34
	s_mul_hi_u32 s33, s29, s35
	s_add_co_u32 s2, s36, s27
	s_add_co_ci_u32 s2, s37, s21
	s_mul_i32 s34, s29, s35
	s_add_co_ci_u32 s35, s33, 0
	s_delay_alu instid0(SALU_CYCLE_1) | instskip(NEXT) | instid1(SALU_CYCLE_1)
	s_add_nc_u64 s[34:35], s[2:3], s[34:35]
	s_add_co_u32 s28, s28, s34
	s_cselect_b32 s2, -1, 0
	s_delay_alu instid0(SALU_CYCLE_1) | instskip(SKIP_1) | instid1(SALU_CYCLE_1)
	s_cmp_lg_u32 s2, 0
	s_add_co_ci_u32 s29, s29, s35
	s_mul_u64 s[30:31], s[30:31], s[28:29]
	s_delay_alu instid0(SALU_CYCLE_1)
	s_mul_hi_u32 s35, s28, s31
	s_mul_i32 s34, s28, s31
	s_mul_hi_u32 s2, s28, s30
	s_mul_i32 s27, s29, s30
	s_add_nc_u64 s[34:35], s[2:3], s[34:35]
	s_mul_hi_u32 s21, s29, s30
	s_mul_hi_u32 s33, s29, s31
	s_add_co_u32 s2, s34, s27
	s_add_co_ci_u32 s2, s35, s21
	s_mul_i32 s30, s29, s31
	s_add_co_ci_u32 s31, s33, 0
	s_delay_alu instid0(SALU_CYCLE_1) | instskip(NEXT) | instid1(SALU_CYCLE_1)
	s_add_nc_u64 s[30:31], s[2:3], s[30:31]
	s_add_co_u32 s28, s28, s30
	s_cselect_b32 s2, -1, 0
	v_mul_hi_u32 v22, v14, s28
	s_cmp_lg_u32 s2, 0
	s_add_co_ci_u32 s2, s29, s31
	s_and_b64 s[30:31], s[28:29], s[14:15]
	v_mul_u64_e32 v[16:17], s[2:3], v[14:15]
	v_mul_u64_e32 v[12:13], s[30:31], v[18:19]
	;; [unrolled: 1-line block ×3, first 2 shown]
	s_delay_alu instid0(VALU_DEP_3) | instskip(NEXT) | instid1(VALU_DEP_1)
	v_add_nc_u64_e32 v[16:17], v[22:23], v[16:17]
	v_add_co_u32 v7, vcc_lo, v16, v12
	s_delay_alu instid0(VALU_DEP_2) | instskip(NEXT) | instid1(VALU_DEP_4)
	v_add_co_ci_u32_e32 v22, vcc_lo, v17, v13, vcc_lo
	v_add_co_ci_u32_e32 v21, vcc_lo, 0, v21, vcc_lo
	s_delay_alu instid0(VALU_DEP_1) | instskip(NEXT) | instid1(VALU_DEP_1)
	v_add_nc_u64_e32 v[12:13], v[22:23], v[20:21]
	v_mul_u64_e32 v[16:17], s[22:23], v[12:13]
	s_delay_alu instid0(VALU_DEP_1) | instskip(NEXT) | instid1(VALU_DEP_2)
	v_sub_nc_u32_e32 v7, v18, v17
	v_sub_co_u32 v11, vcc_lo, v14, v16
	s_delay_alu instid0(VALU_DEP_1) | instskip(NEXT) | instid1(VALU_DEP_3)
	v_sub_co_ci_u32_e64 v18, null, v18, v17, vcc_lo
	v_subrev_co_ci_u32_e64 v7, null, s23, v7, vcc_lo
	s_delay_alu instid0(VALU_DEP_3) | instskip(SKIP_1) | instid1(VALU_DEP_3)
	v_sub_co_u32 v14, s2, v11, s22
	v_add_nc_u64_e32 v[16:17], 1, v[12:13]
	v_subrev_co_ci_u32_e64 v7, null, 0, v7, s2
	s_delay_alu instid0(VALU_DEP_3) | instskip(SKIP_1) | instid1(VALU_DEP_3)
	v_cmp_le_u32_e32 vcc_lo, s22, v14
	v_cndmask_b32_e64 v14, 0, -1, vcc_lo
	v_cmp_le_u32_e32 vcc_lo, s23, v7
	v_cndmask_b32_e64 v15, 0, -1, vcc_lo
	;; [unrolled: 2-line block ×4, first 2 shown]
	v_cmp_eq_u32_e32 vcc_lo, s23, v7
	v_cndmask_b32_e32 v7, v15, v14, vcc_lo
	v_cmp_eq_u32_e32 vcc_lo, s23, v18
	v_add_nc_u64_e32 v[14:15], 2, v[12:13]
	v_cndmask_b32_e32 v11, v19, v11, vcc_lo
	s_delay_alu instid0(VALU_DEP_4) | instskip(NEXT) | instid1(VALU_DEP_2)
	v_cmp_ne_u32_e32 vcc_lo, 0, v7
	v_cmp_ne_u32_e64 s2, 0, v11
	s_delay_alu instid0(VALU_DEP_4) | instskip(NEXT) | instid1(VALU_DEP_1)
	v_dual_cndmask_b32 v7, v17, v15, vcc_lo :: v_dual_cndmask_b32 v11, v16, v14, vcc_lo
	v_dual_cndmask_b32 v7, v13, v7, s2 :: v_dual_bitop2_b32 v10, s20, v10 bitop3:0x14
	s_delay_alu instid0(VALU_DEP_1) | instskip(NEXT) | instid1(VALU_DEP_2)
	v_dual_cndmask_b32 v12, v12, v11, s2 :: v_dual_mov_b32 v11, v10
	v_xor_b32_e32 v13, v7, v10
	s_delay_alu instid0(VALU_DEP_2) | instskip(NEXT) | instid1(VALU_DEP_1)
	v_xor_b32_e32 v12, v12, v10
	v_sub_nc_u64_e32 v[10:11], v[12:13], v[10:11]
.LBB11_5:                               ;   in Loop: Header=BB11_3 Depth=1
	s_and_not1_saveexec_b32 s2, s26
	s_cbranch_execz .LBB11_7
; %bb.6:                                ;   in Loop: Header=BB11_3 Depth=1
	v_cvt_f32_u32_e32 v7, s18
	s_sub_co_i32 s20, 0, s18
	s_delay_alu instid0(VALU_DEP_1) | instskip(SKIP_1) | instid1(TRANS32_DEP_1)
	v_rcp_iflag_f32_e32 v7, v7
	v_nop
	v_mul_f32_e32 v7, 0x4f7ffffe, v7
	s_delay_alu instid0(VALU_DEP_1) | instskip(NEXT) | instid1(VALU_DEP_1)
	v_cvt_u32_f32_e32 v7, v7
	v_mul_lo_u32 v10, s20, v7
	s_delay_alu instid0(VALU_DEP_1) | instskip(NEXT) | instid1(VALU_DEP_1)
	v_mul_hi_u32 v10, v7, v10
	v_add_nc_u32_e32 v7, v7, v10
	s_delay_alu instid0(VALU_DEP_1) | instskip(NEXT) | instid1(VALU_DEP_1)
	v_mul_hi_u32 v7, v8, v7
	v_mul_lo_u32 v10, v7, s18
	s_delay_alu instid0(VALU_DEP_1) | instskip(NEXT) | instid1(VALU_DEP_1)
	v_dual_add_nc_u32 v11, 1, v7 :: v_dual_sub_nc_u32 v10, v8, v10
	v_subrev_nc_u32_e32 v12, s18, v10
	v_cmp_le_u32_e32 vcc_lo, s18, v10
	s_delay_alu instid0(VALU_DEP_2) | instskip(NEXT) | instid1(VALU_DEP_1)
	v_dual_cndmask_b32 v10, v10, v12 :: v_dual_cndmask_b32 v7, v7, v11
	v_cmp_le_u32_e32 vcc_lo, s18, v10
	s_delay_alu instid0(VALU_DEP_2) | instskip(NEXT) | instid1(VALU_DEP_1)
	v_add_nc_u32_e32 v11, 1, v7
	v_dual_cndmask_b32 v10, v7, v11 :: v_dual_mov_b32 v11, v6
.LBB11_7:                               ;   in Loop: Header=BB11_3 Depth=1
	s_or_b32 exec_lo, exec_lo, s2
	s_delay_alu instid0(VALU_DEP_1)
	v_mul_u64_e32 v[12:13], s[18:19], v[10:11]
	s_load_b64 s[18:19], s[16:17], 0xc8
	s_add_co_i32 s25, s25, -1
	s_wait_xcnt 0x0
	s_add_nc_u64 s[16:17], s[16:17], -8
	s_cmp_gt_u32 s25, 2
	s_delay_alu instid0(VALU_DEP_1) | instskip(SKIP_1) | instid1(VALU_DEP_1)
	v_sub_nc_u64_e32 v[8:9], v[8:9], v[12:13]
	s_wait_kmcnt 0x0
	v_mad_nc_u64_u32 v[4:5], s18, v8, v[4:5]
	s_delay_alu instid0(VALU_DEP_1) | instskip(NEXT) | instid1(VALU_DEP_1)
	v_mad_u32 v5, s19, v8, v5
	v_mad_u32 v5, s18, v9, v5
	s_cbranch_scc0 .LBB11_10
; %bb.8:                                ;   in Loop: Header=BB11_3 Depth=1
	v_mov_b64_e32 v[8:9], v[10:11]
	s_branch .LBB11_3
.LBB11_9:
	v_mov_b64_e32 v[10:11], v[0:1]
.LBB11_10:
	v_mul_u64_e32 v[8:9], s[12:13], v[2:3]
	v_mul_u64_e32 v[6:7], s[10:11], v[2:3]
	s_clause 0x2
	s_load_b64 s[10:11], s[0:1], 0x1a8
	s_load_b32 s3, s[8:9], 0xd0
	s_load_b64 s[12:13], s[8:9], 0x0
	s_ashr_i32 s2, s24, 31
	s_wait_xcnt 0x0
	s_load_b64 s[0:1], s[0:1], 0x0
	s_wait_kmcnt 0x0
	v_mad_u32 v5, s3, v10, v4
	s_ashr_i32 s3, s5, 31
	s_delay_alu instid0(VALU_DEP_3) | instskip(SKIP_1) | instid1(VALU_DEP_4)
	v_mul_lo_u32 v3, v9, s4
	v_mov_b32_e32 v4, 0
	v_mul_lo_u32 v7, v7, s7
	s_delay_alu instid0(VALU_DEP_3) | instskip(NEXT) | instid1(VALU_DEP_3)
	v_sub_nc_u32_e32 v3, v2, v3
	v_ashrrev_i64 v[4:5], 29, v[4:5]
	s_delay_alu instid0(VALU_DEP_3) | instskip(NEXT) | instid1(VALU_DEP_3)
	v_sub_nc_u32_e32 v7, v2, v7
	v_subrev_nc_u32_e32 v8, s4, v3
	v_cmp_le_u32_e32 vcc_lo, s4, v3
	v_add_nc_u32_e32 v6, 1, v9
	v_add_nc_u64_e32 v[4:5], s[12:13], v[4:5]
	s_delay_alu instid0(VALU_DEP_2)
	v_dual_cndmask_b32 v3, v3, v8 :: v_dual_cndmask_b32 v6, v9, v6
	v_xor_b32_e32 v9, s2, v1
	s_mov_b32 s2, s5
	global_load_b64 v[4:5], v[4:5], off
	v_cmp_le_u32_e32 vcc_lo, s4, v3
	v_add_nc_u32_e32 v8, 1, v6
	s_delay_alu instid0(VALU_DEP_1)
	v_cndmask_b32_e32 v6, v6, v8, vcc_lo
	v_cmp_le_u32_e32 vcc_lo, s7, v7
	s_wait_loadcnt 0x0
	v_mul_u64_e32 v[2:3], s[2:3], v[4:5]
	v_subrev_nc_u32_e32 v5, s7, v7
	s_mul_i32 s2, s6, s5
	s_delay_alu instid0(VALU_DEP_1) | instskip(NEXT) | instid1(VALU_DEP_1)
	v_cndmask_b32_e32 v5, v7, v5, vcc_lo
	v_cmp_le_u32_e32 vcc_lo, s7, v5
	v_xor_b32_e32 v4, v6, v9
	v_subrev_nc_u32_e32 v6, s7, v5
	s_delay_alu instid0(VALU_DEP_1) | instskip(SKIP_2) | instid1(VALU_DEP_2)
	v_dual_cndmask_b32 v6, v5, v6, vcc_lo :: v_dual_sub_nc_u32 v4, v4, v9
	v_lshl_add_u64 v[8:9], v[0:1], 2, s[0:1]
	s_mov_b32 s0, 0
	v_xor_b32_e32 v6, v6, v1
	s_delay_alu instid0(VALU_DEP_3) | instskip(NEXT) | instid1(VALU_DEP_2)
	v_mul_lo_u32 v4, s2, v4
	v_sub_nc_u32_e32 v6, v6, v1
	s_delay_alu instid0(VALU_DEP_1) | instskip(NEXT) | instid1(VALU_DEP_1)
	v_dual_ashrrev_i32 v7, 31, v6 :: v_dual_ashrrev_i32 v5, 31, v4
	v_lshl_add_u64 v[4:5], v[4:5], 2, s[10:11]
	s_delay_alu instid0(VALU_DEP_1) | instskip(NEXT) | instid1(VALU_DEP_1)
	v_lshl_add_u64 v[2:3], v[2:3], 2, v[4:5]
	v_lshl_add_u64 v[0:1], v[6:7], 2, v[2:3]
	global_load_b32 v4, v[8:9], off
	global_load_b32 v3, v[0:1], off scope:SCOPE_SYS
.LBB11_11:                              ; =>This Inner Loop Header: Depth=1
	s_wait_loadcnt 0x0
	v_div_scale_f32 v2, null, v4, v4, v3
	v_div_scale_f32 v7, vcc_lo, v3, v4, v3
	s_delay_alu instid0(VALU_DEP_2) | instskip(SKIP_1) | instid1(TRANS32_DEP_1)
	v_rcp_f32_e32 v5, v2
	v_nop
	v_fma_f32 v6, -v2, v5, 1.0
	s_delay_alu instid0(VALU_DEP_1) | instskip(NEXT) | instid1(VALU_DEP_1)
	v_fmac_f32_e32 v5, v6, v5
	v_mul_f32_e32 v6, v7, v5
	s_delay_alu instid0(VALU_DEP_1) | instskip(NEXT) | instid1(VALU_DEP_1)
	v_fma_f32 v8, -v2, v6, v7
	v_fmac_f32_e32 v6, v8, v5
	s_delay_alu instid0(VALU_DEP_1) | instskip(NEXT) | instid1(VALU_DEP_1)
	v_fma_f32 v2, -v2, v6, v7
	v_div_fmas_f32 v2, v2, v5, v6
	s_delay_alu instid0(VALU_DEP_1)
	v_div_fixup_f32 v2, v2, v4, v3
	global_atomic_cmpswap_b32 v2, v[0:1], v[2:3], off th:TH_ATOMIC_RETURN scope:SCOPE_DEV
	s_wait_loadcnt 0x0
	v_cmp_eq_u32_e32 vcc_lo, v3, v2
	v_mov_b32_e32 v3, v2
	s_or_b32 s0, vcc_lo, s0
	s_delay_alu instid0(SALU_CYCLE_1)
	s_and_not1_b32 exec_lo, exec_lo, s0
	s_cbranch_execnz .LBB11_11
.LBB11_12:
	s_endpgm
	.section	.rodata,"a",@progbits
	.p2align	6, 0x0
	.amdhsa_kernel _Z14scatter_kernelIfL13ReductionType2EEvPKT_10TensorInfoIllEPS1_iiii
		.amdhsa_group_segment_fixed_size 0
		.amdhsa_private_segment_fixed_size 0
		.amdhsa_kernarg_size 704
		.amdhsa_user_sgpr_count 2
		.amdhsa_user_sgpr_dispatch_ptr 0
		.amdhsa_user_sgpr_queue_ptr 0
		.amdhsa_user_sgpr_kernarg_segment_ptr 1
		.amdhsa_user_sgpr_dispatch_id 0
		.amdhsa_user_sgpr_kernarg_preload_length 0
		.amdhsa_user_sgpr_kernarg_preload_offset 0
		.amdhsa_user_sgpr_private_segment_size 0
		.amdhsa_wavefront_size32 1
		.amdhsa_uses_dynamic_stack 0
		.amdhsa_enable_private_segment 0
		.amdhsa_system_sgpr_workgroup_id_x 1
		.amdhsa_system_sgpr_workgroup_id_y 0
		.amdhsa_system_sgpr_workgroup_id_z 0
		.amdhsa_system_sgpr_workgroup_info 0
		.amdhsa_system_vgpr_workitem_id 0
		.amdhsa_next_free_vgpr 24
		.amdhsa_next_free_sgpr 38
		.amdhsa_named_barrier_count 0
		.amdhsa_reserve_vcc 1
		.amdhsa_float_round_mode_32 0
		.amdhsa_float_round_mode_16_64 0
		.amdhsa_float_denorm_mode_32 3
		.amdhsa_float_denorm_mode_16_64 3
		.amdhsa_fp16_overflow 0
		.amdhsa_memory_ordered 1
		.amdhsa_forward_progress 1
		.amdhsa_inst_pref_size 13
		.amdhsa_round_robin_scheduling 0
		.amdhsa_exception_fp_ieee_invalid_op 0
		.amdhsa_exception_fp_denorm_src 0
		.amdhsa_exception_fp_ieee_div_zero 0
		.amdhsa_exception_fp_ieee_overflow 0
		.amdhsa_exception_fp_ieee_underflow 0
		.amdhsa_exception_fp_ieee_inexact 0
		.amdhsa_exception_int_div_zero 0
	.end_amdhsa_kernel
	.section	.text._Z14scatter_kernelIfL13ReductionType2EEvPKT_10TensorInfoIllEPS1_iiii,"axG",@progbits,_Z14scatter_kernelIfL13ReductionType2EEvPKT_10TensorInfoIllEPS1_iiii,comdat
.Lfunc_end11:
	.size	_Z14scatter_kernelIfL13ReductionType2EEvPKT_10TensorInfoIllEPS1_iiii, .Lfunc_end11-_Z14scatter_kernelIfL13ReductionType2EEvPKT_10TensorInfoIllEPS1_iiii
                                        ; -- End function
	.set _Z14scatter_kernelIfL13ReductionType2EEvPKT_10TensorInfoIllEPS1_iiii.num_vgpr, 24
	.set _Z14scatter_kernelIfL13ReductionType2EEvPKT_10TensorInfoIllEPS1_iiii.num_agpr, 0
	.set _Z14scatter_kernelIfL13ReductionType2EEvPKT_10TensorInfoIllEPS1_iiii.numbered_sgpr, 38
	.set _Z14scatter_kernelIfL13ReductionType2EEvPKT_10TensorInfoIllEPS1_iiii.num_named_barrier, 0
	.set _Z14scatter_kernelIfL13ReductionType2EEvPKT_10TensorInfoIllEPS1_iiii.private_seg_size, 0
	.set _Z14scatter_kernelIfL13ReductionType2EEvPKT_10TensorInfoIllEPS1_iiii.uses_vcc, 1
	.set _Z14scatter_kernelIfL13ReductionType2EEvPKT_10TensorInfoIllEPS1_iiii.uses_flat_scratch, 0
	.set _Z14scatter_kernelIfL13ReductionType2EEvPKT_10TensorInfoIllEPS1_iiii.has_dyn_sized_stack, 0
	.set _Z14scatter_kernelIfL13ReductionType2EEvPKT_10TensorInfoIllEPS1_iiii.has_recursion, 0
	.set _Z14scatter_kernelIfL13ReductionType2EEvPKT_10TensorInfoIllEPS1_iiii.has_indirect_call, 0
	.section	.AMDGPU.csdata,"",@progbits
; Kernel info:
; codeLenInByte = 1612
; TotalNumSgprs: 40
; NumVgprs: 24
; ScratchSize: 0
; MemoryBound: 0
; FloatMode: 240
; IeeeMode: 1
; LDSByteSize: 0 bytes/workgroup (compile time only)
; SGPRBlocks: 0
; VGPRBlocks: 1
; NumSGPRsForWavesPerEU: 40
; NumVGPRsForWavesPerEU: 24
; NamedBarCnt: 0
; Occupancy: 16
; WaveLimiterHint : 1
; COMPUTE_PGM_RSRC2:SCRATCH_EN: 0
; COMPUTE_PGM_RSRC2:USER_SGPR: 2
; COMPUTE_PGM_RSRC2:TRAP_HANDLER: 0
; COMPUTE_PGM_RSRC2:TGID_X_EN: 1
; COMPUTE_PGM_RSRC2:TGID_Y_EN: 0
; COMPUTE_PGM_RSRC2:TGID_Z_EN: 0
; COMPUTE_PGM_RSRC2:TIDIG_COMP_CNT: 0
	.section	.text._Z14scatter_kernelIfL13ReductionType0EEvPKT_10TensorInfoIllEPS1_iiii,"axG",@progbits,_Z14scatter_kernelIfL13ReductionType0EEvPKT_10TensorInfoIllEPS1_iiii,comdat
	.protected	_Z14scatter_kernelIfL13ReductionType0EEvPKT_10TensorInfoIllEPS1_iiii ; -- Begin function _Z14scatter_kernelIfL13ReductionType0EEvPKT_10TensorInfoIllEPS1_iiii
	.globl	_Z14scatter_kernelIfL13ReductionType0EEvPKT_10TensorInfoIllEPS1_iiii
	.p2align	8
	.type	_Z14scatter_kernelIfL13ReductionType0EEvPKT_10TensorInfoIllEPS1_iiii,@function
_Z14scatter_kernelIfL13ReductionType0EEvPKT_10TensorInfoIllEPS1_iiii: ; @_Z14scatter_kernelIfL13ReductionType0EEvPKT_10TensorInfoIllEPS1_iiii
; %bb.0:
	s_clause 0x1
	s_load_b32 s2, s[0:1], 0x1cc
	s_load_b128 s[4:7], s[0:1], 0x1b0
	s_bfe_u32 s3, ttmp6, 0x4000c
	s_and_b32 s8, ttmp6, 15
	s_add_co_i32 s3, s3, 1
	s_getreg_b32 s9, hwreg(HW_REG_IB_STS2, 6, 4)
	s_mul_i32 s3, ttmp9, s3
	s_mov_b32 s11, 0
	s_add_co_i32 s8, s8, s3
	s_wait_kmcnt 0x0
	s_and_b32 s2, s2, 0xffff
	s_cmp_eq_u32 s9, 0
	s_cselect_b32 s3, ttmp9, s8
	s_delay_alu instid0(SALU_CYCLE_1) | instskip(SKIP_1) | instid1(VALU_DEP_1)
	v_mad_u32 v0, s3, s2, v0
	s_mov_b32 s2, exec_lo
	v_cmpx_gt_i32_e64 s7, v0
	s_cbranch_execz .LBB12_11
; %bb.1:
	s_abs_i32 s7, s5
	s_mul_i32 s24, s5, s4
	s_cvt_f32_u32 s2, s7
	s_abs_i32 s4, s24
	s_load_b32 s16, s[0:1], 0x1a0
	s_cvt_f32_u32 s3, s4
	v_rcp_iflag_f32_e32 v1, s2
	s_sub_co_i32 s10, 0, s7
	s_sub_co_i32 s12, 0, s4
	v_rcp_iflag_f32_e32 v2, s3
	v_mov_b64_e32 v[4:5], 0
	s_add_nc_u64 s[8:9], s[0:1], 8
	s_mov_b32 s13, s11
	v_readfirstlane_b32 s2, v1
	v_dual_mov_b32 v6, 0 :: v_dual_sub_nc_u32 v1, 0, v0
	s_delay_alu instid0(TRANS32_DEP_1) | instskip(SKIP_3) | instid1(SALU_CYCLE_1)
	v_readfirstlane_b32 s3, v2
	s_mul_f32 s2, s2, 0x4f7ffffe
	v_dual_mov_b32 v3, v6 :: v_dual_max_i32 v2, v0, v1
	s_mul_f32 s3, s3, 0x4f7ffffe
	s_cvt_u32_f32 s2, s2
	v_ashrrev_i32_e32 v1, 31, v0
	s_delay_alu instid0(SALU_CYCLE_1) | instskip(NEXT) | instid1(SALU_CYCLE_1)
	s_cvt_u32_f32 s3, s3
	s_mul_i32 s10, s10, s2
	s_delay_alu instid0(SALU_CYCLE_1) | instskip(NEXT) | instid1(SALU_CYCLE_1)
	s_mul_hi_u32 s10, s2, s10
	s_mul_i32 s12, s12, s3
	s_add_co_i32 s10, s2, s10
	s_mul_hi_u32 s2, s3, s12
	s_delay_alu instid0(SALU_CYCLE_1)
	s_add_co_i32 s12, s3, s2
	s_wait_kmcnt 0x0
	s_cmp_lt_i32 s16, 2
	s_cbranch_scc1 .LBB12_9
; %bb.2:
	s_add_co_i32 s2, s16, -1
	s_mov_b32 s3, 0
	v_mov_b64_e32 v[4:5], 0
	v_mov_b64_e32 v[8:9], v[0:1]
	s_lshl_b64 s[18:19], s[2:3], 3
	s_mov_b64 s[14:15], 0xffffffff
	s_add_nc_u64 s[18:19], s[8:9], s[18:19]
	s_add_co_i32 s25, s16, 1
	s_add_nc_u64 s[16:17], s[18:19], 8
.LBB12_3:                               ; =>This Inner Loop Header: Depth=1
	s_load_b64 s[18:19], s[16:17], 0x0
                                        ; implicit-def: $vgpr10_vgpr11
	s_mov_b32 s2, exec_lo
	s_wait_kmcnt 0x0
	s_delay_alu instid0(VALU_DEP_1) | instskip(NEXT) | instid1(VALU_DEP_1)
	v_or_b32_e32 v7, s19, v9
	v_cmpx_ne_u64_e32 0, v[6:7]
	s_xor_b32 s26, exec_lo, s2
	s_cbranch_execz .LBB12_5
; %bb.4:                                ;   in Loop: Header=BB12_3 Depth=1
	s_ashr_i32 s20, s19, 31
	v_dual_mov_b32 v15, v6 :: v_dual_ashrrev_i32 v10, 31, v9
	s_mov_b32 s21, s20
	v_mov_b32_e32 v23, v6
	s_add_nc_u64 s[22:23], s[18:19], s[20:21]
	s_delay_alu instid0(VALU_DEP_2) | instskip(SKIP_1) | instid1(SALU_CYCLE_1)
	v_mov_b32_e32 v11, v10
	s_xor_b64 s[22:23], s[22:23], s[20:21]
	s_cvt_f32_u32 s2, s22
	s_cvt_f32_u32 s21, s23
	s_sub_nc_u64 s[30:31], 0, s[22:23]
	v_add_nc_u64_e32 v[12:13], v[8:9], v[10:11]
	v_mov_b32_e32 v19, v6
	s_fmamk_f32 s2, s21, 0x4f800000, s2
	s_delay_alu instid0(SALU_CYCLE_3) | instskip(NEXT) | instid1(VALU_DEP_2)
	v_s_rcp_f32 s2, s2
	v_xor_b32_e32 v14, v12, v10
	s_delay_alu instid0(VALU_DEP_3) | instskip(NEXT) | instid1(TRANS32_DEP_1)
	v_xor_b32_e32 v18, v13, v10
	s_mul_f32 s2, s2, 0x5f7ffffc
	s_delay_alu instid0(SALU_CYCLE_3) | instskip(NEXT) | instid1(SALU_CYCLE_3)
	s_mul_f32 s21, s2, 0x2f800000
	s_trunc_f32 s21, s21
	s_delay_alu instid0(SALU_CYCLE_3) | instskip(SKIP_1) | instid1(SALU_CYCLE_2)
	s_fmamk_f32 s2, s21, 0xcf800000, s2
	s_cvt_u32_f32 s29, s21
	s_cvt_u32_f32 s28, s2
	s_delay_alu instid0(SALU_CYCLE_3) | instskip(NEXT) | instid1(SALU_CYCLE_1)
	s_mul_u64 s[34:35], s[30:31], s[28:29]
	s_mul_hi_u32 s37, s28, s35
	s_mul_i32 s36, s28, s35
	s_mul_hi_u32 s2, s28, s34
	s_mul_i32 s27, s29, s34
	s_add_nc_u64 s[36:37], s[2:3], s[36:37]
	s_mul_hi_u32 s21, s29, s34
	s_mul_hi_u32 s33, s29, s35
	s_add_co_u32 s2, s36, s27
	s_add_co_ci_u32 s2, s37, s21
	s_mul_i32 s34, s29, s35
	s_add_co_ci_u32 s35, s33, 0
	s_delay_alu instid0(SALU_CYCLE_1) | instskip(NEXT) | instid1(SALU_CYCLE_1)
	s_add_nc_u64 s[34:35], s[2:3], s[34:35]
	s_add_co_u32 s28, s28, s34
	s_cselect_b32 s2, -1, 0
	s_delay_alu instid0(SALU_CYCLE_1) | instskip(SKIP_1) | instid1(SALU_CYCLE_1)
	s_cmp_lg_u32 s2, 0
	s_add_co_ci_u32 s29, s29, s35
	s_mul_u64 s[30:31], s[30:31], s[28:29]
	s_delay_alu instid0(SALU_CYCLE_1)
	s_mul_hi_u32 s35, s28, s31
	s_mul_i32 s34, s28, s31
	s_mul_hi_u32 s2, s28, s30
	s_mul_i32 s27, s29, s30
	s_add_nc_u64 s[34:35], s[2:3], s[34:35]
	s_mul_hi_u32 s21, s29, s30
	s_mul_hi_u32 s33, s29, s31
	s_add_co_u32 s2, s34, s27
	s_add_co_ci_u32 s2, s35, s21
	s_mul_i32 s30, s29, s31
	s_add_co_ci_u32 s31, s33, 0
	s_delay_alu instid0(SALU_CYCLE_1) | instskip(NEXT) | instid1(SALU_CYCLE_1)
	s_add_nc_u64 s[30:31], s[2:3], s[30:31]
	s_add_co_u32 s28, s28, s30
	s_cselect_b32 s2, -1, 0
	v_mul_hi_u32 v22, v14, s28
	s_cmp_lg_u32 s2, 0
	s_add_co_ci_u32 s2, s29, s31
	s_and_b64 s[30:31], s[28:29], s[14:15]
	v_mul_u64_e32 v[16:17], s[2:3], v[14:15]
	v_mul_u64_e32 v[12:13], s[30:31], v[18:19]
	;; [unrolled: 1-line block ×3, first 2 shown]
	s_delay_alu instid0(VALU_DEP_3) | instskip(NEXT) | instid1(VALU_DEP_1)
	v_add_nc_u64_e32 v[16:17], v[22:23], v[16:17]
	v_add_co_u32 v7, vcc_lo, v16, v12
	s_delay_alu instid0(VALU_DEP_2) | instskip(NEXT) | instid1(VALU_DEP_4)
	v_add_co_ci_u32_e32 v22, vcc_lo, v17, v13, vcc_lo
	v_add_co_ci_u32_e32 v21, vcc_lo, 0, v21, vcc_lo
	s_delay_alu instid0(VALU_DEP_1) | instskip(NEXT) | instid1(VALU_DEP_1)
	v_add_nc_u64_e32 v[12:13], v[22:23], v[20:21]
	v_mul_u64_e32 v[16:17], s[22:23], v[12:13]
	s_delay_alu instid0(VALU_DEP_1) | instskip(NEXT) | instid1(VALU_DEP_2)
	v_sub_nc_u32_e32 v7, v18, v17
	v_sub_co_u32 v11, vcc_lo, v14, v16
	s_delay_alu instid0(VALU_DEP_1) | instskip(NEXT) | instid1(VALU_DEP_3)
	v_sub_co_ci_u32_e64 v18, null, v18, v17, vcc_lo
	v_subrev_co_ci_u32_e64 v7, null, s23, v7, vcc_lo
	s_delay_alu instid0(VALU_DEP_3) | instskip(SKIP_1) | instid1(VALU_DEP_3)
	v_sub_co_u32 v14, s2, v11, s22
	v_add_nc_u64_e32 v[16:17], 1, v[12:13]
	v_subrev_co_ci_u32_e64 v7, null, 0, v7, s2
	s_delay_alu instid0(VALU_DEP_3) | instskip(SKIP_1) | instid1(VALU_DEP_3)
	v_cmp_le_u32_e32 vcc_lo, s22, v14
	v_cndmask_b32_e64 v14, 0, -1, vcc_lo
	v_cmp_le_u32_e32 vcc_lo, s23, v7
	v_cndmask_b32_e64 v15, 0, -1, vcc_lo
	;; [unrolled: 2-line block ×4, first 2 shown]
	v_cmp_eq_u32_e32 vcc_lo, s23, v7
	v_cndmask_b32_e32 v7, v15, v14, vcc_lo
	v_cmp_eq_u32_e32 vcc_lo, s23, v18
	v_add_nc_u64_e32 v[14:15], 2, v[12:13]
	v_cndmask_b32_e32 v11, v19, v11, vcc_lo
	s_delay_alu instid0(VALU_DEP_4) | instskip(NEXT) | instid1(VALU_DEP_2)
	v_cmp_ne_u32_e32 vcc_lo, 0, v7
	v_cmp_ne_u32_e64 s2, 0, v11
	s_delay_alu instid0(VALU_DEP_4) | instskip(NEXT) | instid1(VALU_DEP_1)
	v_dual_cndmask_b32 v7, v17, v15, vcc_lo :: v_dual_cndmask_b32 v11, v16, v14, vcc_lo
	v_dual_cndmask_b32 v7, v13, v7, s2 :: v_dual_bitop2_b32 v10, s20, v10 bitop3:0x14
	s_delay_alu instid0(VALU_DEP_1) | instskip(NEXT) | instid1(VALU_DEP_2)
	v_dual_cndmask_b32 v12, v12, v11, s2 :: v_dual_mov_b32 v11, v10
	v_xor_b32_e32 v13, v7, v10
	s_delay_alu instid0(VALU_DEP_2) | instskip(NEXT) | instid1(VALU_DEP_1)
	v_xor_b32_e32 v12, v12, v10
	v_sub_nc_u64_e32 v[10:11], v[12:13], v[10:11]
.LBB12_5:                               ;   in Loop: Header=BB12_3 Depth=1
	s_and_not1_saveexec_b32 s2, s26
	s_cbranch_execz .LBB12_7
; %bb.6:                                ;   in Loop: Header=BB12_3 Depth=1
	v_cvt_f32_u32_e32 v7, s18
	s_sub_co_i32 s20, 0, s18
	s_delay_alu instid0(VALU_DEP_1) | instskip(SKIP_1) | instid1(TRANS32_DEP_1)
	v_rcp_iflag_f32_e32 v7, v7
	v_nop
	v_mul_f32_e32 v7, 0x4f7ffffe, v7
	s_delay_alu instid0(VALU_DEP_1) | instskip(NEXT) | instid1(VALU_DEP_1)
	v_cvt_u32_f32_e32 v7, v7
	v_mul_lo_u32 v10, s20, v7
	s_delay_alu instid0(VALU_DEP_1) | instskip(NEXT) | instid1(VALU_DEP_1)
	v_mul_hi_u32 v10, v7, v10
	v_add_nc_u32_e32 v7, v7, v10
	s_delay_alu instid0(VALU_DEP_1) | instskip(NEXT) | instid1(VALU_DEP_1)
	v_mul_hi_u32 v7, v8, v7
	v_mul_lo_u32 v10, v7, s18
	s_delay_alu instid0(VALU_DEP_1) | instskip(NEXT) | instid1(VALU_DEP_1)
	v_dual_add_nc_u32 v11, 1, v7 :: v_dual_sub_nc_u32 v10, v8, v10
	v_subrev_nc_u32_e32 v12, s18, v10
	v_cmp_le_u32_e32 vcc_lo, s18, v10
	s_delay_alu instid0(VALU_DEP_2) | instskip(NEXT) | instid1(VALU_DEP_1)
	v_dual_cndmask_b32 v10, v10, v12 :: v_dual_cndmask_b32 v7, v7, v11
	v_cmp_le_u32_e32 vcc_lo, s18, v10
	s_delay_alu instid0(VALU_DEP_2) | instskip(NEXT) | instid1(VALU_DEP_1)
	v_add_nc_u32_e32 v11, 1, v7
	v_dual_cndmask_b32 v10, v7, v11 :: v_dual_mov_b32 v11, v6
.LBB12_7:                               ;   in Loop: Header=BB12_3 Depth=1
	s_or_b32 exec_lo, exec_lo, s2
	s_delay_alu instid0(VALU_DEP_1)
	v_mul_u64_e32 v[12:13], s[18:19], v[10:11]
	s_load_b64 s[18:19], s[16:17], 0xc8
	s_add_co_i32 s25, s25, -1
	s_wait_xcnt 0x0
	s_add_nc_u64 s[16:17], s[16:17], -8
	s_cmp_gt_u32 s25, 2
	s_delay_alu instid0(VALU_DEP_1) | instskip(SKIP_1) | instid1(VALU_DEP_1)
	v_sub_nc_u64_e32 v[8:9], v[8:9], v[12:13]
	s_wait_kmcnt 0x0
	v_mad_nc_u64_u32 v[4:5], s18, v8, v[4:5]
	s_delay_alu instid0(VALU_DEP_1) | instskip(NEXT) | instid1(VALU_DEP_1)
	v_mad_u32 v5, s19, v8, v5
	v_mad_u32 v5, s18, v9, v5
	s_cbranch_scc0 .LBB12_10
; %bb.8:                                ;   in Loop: Header=BB12_3 Depth=1
	v_mov_b64_e32 v[8:9], v[10:11]
	s_branch .LBB12_3
.LBB12_9:
	v_mov_b64_e32 v[10:11], v[0:1]
.LBB12_10:
	v_mul_u64_e32 v[6:7], s[12:13], v[2:3]
	v_mul_u64_e32 v[8:9], s[10:11], v[2:3]
	s_clause 0x2
	s_load_b64 s[10:11], s[0:1], 0x1a8
	s_load_b32 s3, s[8:9], 0xd0
	s_load_b64 s[12:13], s[8:9], 0x0
	s_ashr_i32 s2, s24, 31
	s_wait_xcnt 0x0
	s_load_b64 s[0:1], s[0:1], 0x0
	s_wait_kmcnt 0x0
	v_mad_u32 v5, s3, v10, v4
	v_lshl_add_u64 v[10:11], v[0:1], 2, s[0:1]
	s_ashr_i32 s1, s5, 31
	s_mov_b32 s0, s5
	global_load_b32 v6, v[10:11], off
	v_mul_lo_u32 v0, v7, s4
	v_mov_b32_e32 v4, 0
	v_mul_lo_u32 v8, v9, s7
	s_delay_alu instid0(VALU_DEP_3) | instskip(NEXT) | instid1(VALU_DEP_3)
	v_sub_nc_u32_e32 v0, v2, v0
	v_ashrrev_i64 v[4:5], 29, v[4:5]
	s_delay_alu instid0(VALU_DEP_2) | instskip(SKIP_2) | instid1(VALU_DEP_4)
	v_subrev_nc_u32_e32 v9, s4, v0
	v_cmp_le_u32_e32 vcc_lo, s4, v0
	v_add_nc_u32_e32 v3, 1, v7
	v_add_nc_u64_e32 v[4:5], s[12:13], v[4:5]
	s_delay_alu instid0(VALU_DEP_2) | instskip(SKIP_4) | instid1(VALU_DEP_1)
	v_dual_cndmask_b32 v0, v0, v9 :: v_dual_cndmask_b32 v3, v7, v3
	v_xor_b32_e32 v9, s2, v1
	global_load_b64 v[4:5], v[4:5], off
	v_cmp_le_u32_e32 vcc_lo, s4, v0
	v_add_nc_u32_e32 v7, 1, v3
	v_dual_cndmask_b32 v0, v3, v7 :: v_dual_sub_nc_u32 v7, v2, v8
	s_delay_alu instid0(VALU_DEP_1) | instskip(NEXT) | instid1(VALU_DEP_2)
	v_xor_b32_e32 v0, v0, v9
	v_cmp_le_u32_e32 vcc_lo, s7, v7
	s_wait_loadcnt 0x0
	v_mul_u64_e32 v[2:3], s[0:1], v[4:5]
	v_subrev_nc_u32_e32 v4, s7, v7
	v_sub_nc_u32_e32 v0, v0, v9
	s_mul_i32 s0, s6, s5
	s_delay_alu instid0(VALU_DEP_2) | instskip(NEXT) | instid1(VALU_DEP_2)
	v_cndmask_b32_e32 v5, v7, v4, vcc_lo
	v_mul_lo_u32 v4, s0, v0
	s_delay_alu instid0(VALU_DEP_2) | instskip(SKIP_1) | instid1(VALU_DEP_2)
	v_subrev_nc_u32_e32 v0, s7, v5
	v_cmp_le_u32_e32 vcc_lo, s7, v5
	v_cndmask_b32_e32 v0, v5, v0, vcc_lo
	s_delay_alu instid0(VALU_DEP_1) | instskip(NEXT) | instid1(VALU_DEP_1)
	v_dual_ashrrev_i32 v5, 31, v4 :: v_dual_bitop2_b32 v0, v0, v1 bitop3:0x14
	v_lshl_add_u64 v[4:5], v[4:5], 2, s[10:11]
	s_delay_alu instid0(VALU_DEP_2) | instskip(NEXT) | instid1(VALU_DEP_1)
	v_sub_nc_u32_e32 v0, v0, v1
	v_ashrrev_i32_e32 v1, 31, v0
	s_delay_alu instid0(VALU_DEP_3) | instskip(NEXT) | instid1(VALU_DEP_1)
	v_lshl_add_u64 v[2:3], v[2:3], 2, v[4:5]
	v_lshl_add_u64 v[0:1], v[0:1], 2, v[2:3]
	global_atomic_add_f32 v[0:1], v6, off scope:SCOPE_DEV
.LBB12_11:
	s_endpgm
	.section	.rodata,"a",@progbits
	.p2align	6, 0x0
	.amdhsa_kernel _Z14scatter_kernelIfL13ReductionType0EEvPKT_10TensorInfoIllEPS1_iiii
		.amdhsa_group_segment_fixed_size 0
		.amdhsa_private_segment_fixed_size 0
		.amdhsa_kernarg_size 704
		.amdhsa_user_sgpr_count 2
		.amdhsa_user_sgpr_dispatch_ptr 0
		.amdhsa_user_sgpr_queue_ptr 0
		.amdhsa_user_sgpr_kernarg_segment_ptr 1
		.amdhsa_user_sgpr_dispatch_id 0
		.amdhsa_user_sgpr_kernarg_preload_length 0
		.amdhsa_user_sgpr_kernarg_preload_offset 0
		.amdhsa_user_sgpr_private_segment_size 0
		.amdhsa_wavefront_size32 1
		.amdhsa_uses_dynamic_stack 0
		.amdhsa_enable_private_segment 0
		.amdhsa_system_sgpr_workgroup_id_x 1
		.amdhsa_system_sgpr_workgroup_id_y 0
		.amdhsa_system_sgpr_workgroup_id_z 0
		.amdhsa_system_sgpr_workgroup_info 0
		.amdhsa_system_vgpr_workitem_id 0
		.amdhsa_next_free_vgpr 24
		.amdhsa_next_free_sgpr 38
		.amdhsa_named_barrier_count 0
		.amdhsa_reserve_vcc 1
		.amdhsa_float_round_mode_32 0
		.amdhsa_float_round_mode_16_64 0
		.amdhsa_float_denorm_mode_32 3
		.amdhsa_float_denorm_mode_16_64 3
		.amdhsa_fp16_overflow 0
		.amdhsa_memory_ordered 1
		.amdhsa_forward_progress 1
		.amdhsa_inst_pref_size 12
		.amdhsa_round_robin_scheduling 0
		.amdhsa_exception_fp_ieee_invalid_op 0
		.amdhsa_exception_fp_denorm_src 0
		.amdhsa_exception_fp_ieee_div_zero 0
		.amdhsa_exception_fp_ieee_overflow 0
		.amdhsa_exception_fp_ieee_underflow 0
		.amdhsa_exception_fp_ieee_inexact 0
		.amdhsa_exception_int_div_zero 0
	.end_amdhsa_kernel
	.section	.text._Z14scatter_kernelIfL13ReductionType0EEvPKT_10TensorInfoIllEPS1_iiii,"axG",@progbits,_Z14scatter_kernelIfL13ReductionType0EEvPKT_10TensorInfoIllEPS1_iiii,comdat
.Lfunc_end12:
	.size	_Z14scatter_kernelIfL13ReductionType0EEvPKT_10TensorInfoIllEPS1_iiii, .Lfunc_end12-_Z14scatter_kernelIfL13ReductionType0EEvPKT_10TensorInfoIllEPS1_iiii
                                        ; -- End function
	.set _Z14scatter_kernelIfL13ReductionType0EEvPKT_10TensorInfoIllEPS1_iiii.num_vgpr, 24
	.set _Z14scatter_kernelIfL13ReductionType0EEvPKT_10TensorInfoIllEPS1_iiii.num_agpr, 0
	.set _Z14scatter_kernelIfL13ReductionType0EEvPKT_10TensorInfoIllEPS1_iiii.numbered_sgpr, 38
	.set _Z14scatter_kernelIfL13ReductionType0EEvPKT_10TensorInfoIllEPS1_iiii.num_named_barrier, 0
	.set _Z14scatter_kernelIfL13ReductionType0EEvPKT_10TensorInfoIllEPS1_iiii.private_seg_size, 0
	.set _Z14scatter_kernelIfL13ReductionType0EEvPKT_10TensorInfoIllEPS1_iiii.uses_vcc, 1
	.set _Z14scatter_kernelIfL13ReductionType0EEvPKT_10TensorInfoIllEPS1_iiii.uses_flat_scratch, 0
	.set _Z14scatter_kernelIfL13ReductionType0EEvPKT_10TensorInfoIllEPS1_iiii.has_dyn_sized_stack, 0
	.set _Z14scatter_kernelIfL13ReductionType0EEvPKT_10TensorInfoIllEPS1_iiii.has_recursion, 0
	.set _Z14scatter_kernelIfL13ReductionType0EEvPKT_10TensorInfoIllEPS1_iiii.has_indirect_call, 0
	.section	.AMDGPU.csdata,"",@progbits
; Kernel info:
; codeLenInByte = 1460
; TotalNumSgprs: 40
; NumVgprs: 24
; ScratchSize: 0
; MemoryBound: 0
; FloatMode: 240
; IeeeMode: 1
; LDSByteSize: 0 bytes/workgroup (compile time only)
; SGPRBlocks: 0
; VGPRBlocks: 1
; NumSGPRsForWavesPerEU: 40
; NumVGPRsForWavesPerEU: 24
; NamedBarCnt: 0
; Occupancy: 16
; WaveLimiterHint : 1
; COMPUTE_PGM_RSRC2:SCRATCH_EN: 0
; COMPUTE_PGM_RSRC2:USER_SGPR: 2
; COMPUTE_PGM_RSRC2:TRAP_HANDLER: 0
; COMPUTE_PGM_RSRC2:TGID_X_EN: 1
; COMPUTE_PGM_RSRC2:TGID_Y_EN: 0
; COMPUTE_PGM_RSRC2:TGID_Z_EN: 0
; COMPUTE_PGM_RSRC2:TIDIG_COMP_CNT: 0
	.section	.text._Z14scatter_kernelIfL13ReductionType3EEvPKT_10TensorInfoIllEPS1_iiii,"axG",@progbits,_Z14scatter_kernelIfL13ReductionType3EEvPKT_10TensorInfoIllEPS1_iiii,comdat
	.protected	_Z14scatter_kernelIfL13ReductionType3EEvPKT_10TensorInfoIllEPS1_iiii ; -- Begin function _Z14scatter_kernelIfL13ReductionType3EEvPKT_10TensorInfoIllEPS1_iiii
	.globl	_Z14scatter_kernelIfL13ReductionType3EEvPKT_10TensorInfoIllEPS1_iiii
	.p2align	8
	.type	_Z14scatter_kernelIfL13ReductionType3EEvPKT_10TensorInfoIllEPS1_iiii,@function
_Z14scatter_kernelIfL13ReductionType3EEvPKT_10TensorInfoIllEPS1_iiii: ; @_Z14scatter_kernelIfL13ReductionType3EEvPKT_10TensorInfoIllEPS1_iiii
; %bb.0:
	s_clause 0x1
	s_load_b32 s2, s[0:1], 0x1cc
	s_load_b128 s[4:7], s[0:1], 0x1b0
	s_bfe_u32 s3, ttmp6, 0x4000c
	s_and_b32 s8, ttmp6, 15
	s_add_co_i32 s3, s3, 1
	s_getreg_b32 s9, hwreg(HW_REG_IB_STS2, 6, 4)
	s_mul_i32 s3, ttmp9, s3
	s_mov_b32 s11, 0
	s_add_co_i32 s8, s8, s3
	s_wait_kmcnt 0x0
	s_and_b32 s2, s2, 0xffff
	s_cmp_eq_u32 s9, 0
	s_cselect_b32 s3, ttmp9, s8
	s_delay_alu instid0(SALU_CYCLE_1) | instskip(SKIP_1) | instid1(VALU_DEP_1)
	v_mad_u32 v0, s3, s2, v0
	s_mov_b32 s2, exec_lo
	v_cmpx_gt_i32_e64 s7, v0
	s_cbranch_execz .LBB13_12
; %bb.1:
	s_abs_i32 s7, s5
	s_mul_i32 s24, s5, s4
	s_cvt_f32_u32 s2, s7
	s_abs_i32 s4, s24
	s_load_b32 s16, s[0:1], 0x1a0
	s_cvt_f32_u32 s3, s4
	v_rcp_iflag_f32_e32 v1, s2
	s_sub_co_i32 s10, 0, s7
	s_sub_co_i32 s12, 0, s4
	v_rcp_iflag_f32_e32 v2, s3
	v_mov_b64_e32 v[4:5], 0
	s_add_nc_u64 s[8:9], s[0:1], 8
	s_mov_b32 s13, s11
	v_readfirstlane_b32 s2, v1
	v_dual_mov_b32 v6, 0 :: v_dual_sub_nc_u32 v1, 0, v0
	s_delay_alu instid0(TRANS32_DEP_1) | instskip(SKIP_3) | instid1(SALU_CYCLE_1)
	v_readfirstlane_b32 s3, v2
	s_mul_f32 s2, s2, 0x4f7ffffe
	v_dual_mov_b32 v3, v6 :: v_dual_max_i32 v2, v0, v1
	s_mul_f32 s3, s3, 0x4f7ffffe
	s_cvt_u32_f32 s2, s2
	v_ashrrev_i32_e32 v1, 31, v0
	s_delay_alu instid0(SALU_CYCLE_1) | instskip(NEXT) | instid1(SALU_CYCLE_1)
	s_cvt_u32_f32 s3, s3
	s_mul_i32 s10, s10, s2
	s_delay_alu instid0(SALU_CYCLE_1) | instskip(NEXT) | instid1(SALU_CYCLE_1)
	s_mul_hi_u32 s10, s2, s10
	s_mul_i32 s12, s12, s3
	s_add_co_i32 s10, s2, s10
	s_mul_hi_u32 s2, s3, s12
	s_delay_alu instid0(SALU_CYCLE_1)
	s_add_co_i32 s12, s3, s2
	s_wait_kmcnt 0x0
	s_cmp_lt_i32 s16, 2
	s_cbranch_scc1 .LBB13_9
; %bb.2:
	s_add_co_i32 s2, s16, -1
	s_mov_b32 s3, 0
	v_mov_b64_e32 v[4:5], 0
	v_mov_b64_e32 v[8:9], v[0:1]
	s_lshl_b64 s[18:19], s[2:3], 3
	s_mov_b64 s[14:15], 0xffffffff
	s_add_nc_u64 s[18:19], s[8:9], s[18:19]
	s_add_co_i32 s25, s16, 1
	s_add_nc_u64 s[16:17], s[18:19], 8
.LBB13_3:                               ; =>This Inner Loop Header: Depth=1
	s_load_b64 s[18:19], s[16:17], 0x0
                                        ; implicit-def: $vgpr10_vgpr11
	s_mov_b32 s2, exec_lo
	s_wait_kmcnt 0x0
	s_delay_alu instid0(VALU_DEP_1) | instskip(NEXT) | instid1(VALU_DEP_1)
	v_or_b32_e32 v7, s19, v9
	v_cmpx_ne_u64_e32 0, v[6:7]
	s_xor_b32 s26, exec_lo, s2
	s_cbranch_execz .LBB13_5
; %bb.4:                                ;   in Loop: Header=BB13_3 Depth=1
	s_ashr_i32 s20, s19, 31
	v_dual_mov_b32 v15, v6 :: v_dual_ashrrev_i32 v10, 31, v9
	s_mov_b32 s21, s20
	v_mov_b32_e32 v23, v6
	s_add_nc_u64 s[22:23], s[18:19], s[20:21]
	s_delay_alu instid0(VALU_DEP_2) | instskip(SKIP_1) | instid1(SALU_CYCLE_1)
	v_mov_b32_e32 v11, v10
	s_xor_b64 s[22:23], s[22:23], s[20:21]
	s_cvt_f32_u32 s2, s22
	s_cvt_f32_u32 s21, s23
	s_sub_nc_u64 s[30:31], 0, s[22:23]
	v_add_nc_u64_e32 v[12:13], v[8:9], v[10:11]
	v_mov_b32_e32 v19, v6
	s_fmamk_f32 s2, s21, 0x4f800000, s2
	s_delay_alu instid0(SALU_CYCLE_3) | instskip(NEXT) | instid1(VALU_DEP_2)
	v_s_rcp_f32 s2, s2
	v_xor_b32_e32 v14, v12, v10
	s_delay_alu instid0(VALU_DEP_3) | instskip(NEXT) | instid1(TRANS32_DEP_1)
	v_xor_b32_e32 v18, v13, v10
	s_mul_f32 s2, s2, 0x5f7ffffc
	s_delay_alu instid0(SALU_CYCLE_3) | instskip(NEXT) | instid1(SALU_CYCLE_3)
	s_mul_f32 s21, s2, 0x2f800000
	s_trunc_f32 s21, s21
	s_delay_alu instid0(SALU_CYCLE_3) | instskip(SKIP_1) | instid1(SALU_CYCLE_2)
	s_fmamk_f32 s2, s21, 0xcf800000, s2
	s_cvt_u32_f32 s29, s21
	s_cvt_u32_f32 s28, s2
	s_delay_alu instid0(SALU_CYCLE_3) | instskip(NEXT) | instid1(SALU_CYCLE_1)
	s_mul_u64 s[34:35], s[30:31], s[28:29]
	s_mul_hi_u32 s37, s28, s35
	s_mul_i32 s36, s28, s35
	s_mul_hi_u32 s2, s28, s34
	s_mul_i32 s27, s29, s34
	s_add_nc_u64 s[36:37], s[2:3], s[36:37]
	s_mul_hi_u32 s21, s29, s34
	s_mul_hi_u32 s33, s29, s35
	s_add_co_u32 s2, s36, s27
	s_add_co_ci_u32 s2, s37, s21
	s_mul_i32 s34, s29, s35
	s_add_co_ci_u32 s35, s33, 0
	s_delay_alu instid0(SALU_CYCLE_1) | instskip(NEXT) | instid1(SALU_CYCLE_1)
	s_add_nc_u64 s[34:35], s[2:3], s[34:35]
	s_add_co_u32 s28, s28, s34
	s_cselect_b32 s2, -1, 0
	s_delay_alu instid0(SALU_CYCLE_1) | instskip(SKIP_1) | instid1(SALU_CYCLE_1)
	s_cmp_lg_u32 s2, 0
	s_add_co_ci_u32 s29, s29, s35
	s_mul_u64 s[30:31], s[30:31], s[28:29]
	s_delay_alu instid0(SALU_CYCLE_1)
	s_mul_hi_u32 s35, s28, s31
	s_mul_i32 s34, s28, s31
	s_mul_hi_u32 s2, s28, s30
	s_mul_i32 s27, s29, s30
	s_add_nc_u64 s[34:35], s[2:3], s[34:35]
	s_mul_hi_u32 s21, s29, s30
	s_mul_hi_u32 s33, s29, s31
	s_add_co_u32 s2, s34, s27
	s_add_co_ci_u32 s2, s35, s21
	s_mul_i32 s30, s29, s31
	s_add_co_ci_u32 s31, s33, 0
	s_delay_alu instid0(SALU_CYCLE_1) | instskip(NEXT) | instid1(SALU_CYCLE_1)
	s_add_nc_u64 s[30:31], s[2:3], s[30:31]
	s_add_co_u32 s28, s28, s30
	s_cselect_b32 s2, -1, 0
	v_mul_hi_u32 v22, v14, s28
	s_cmp_lg_u32 s2, 0
	s_add_co_ci_u32 s2, s29, s31
	s_and_b64 s[30:31], s[28:29], s[14:15]
	v_mul_u64_e32 v[16:17], s[2:3], v[14:15]
	v_mul_u64_e32 v[12:13], s[30:31], v[18:19]
	;; [unrolled: 1-line block ×3, first 2 shown]
	s_delay_alu instid0(VALU_DEP_3) | instskip(NEXT) | instid1(VALU_DEP_1)
	v_add_nc_u64_e32 v[16:17], v[22:23], v[16:17]
	v_add_co_u32 v7, vcc_lo, v16, v12
	s_delay_alu instid0(VALU_DEP_2) | instskip(NEXT) | instid1(VALU_DEP_4)
	v_add_co_ci_u32_e32 v22, vcc_lo, v17, v13, vcc_lo
	v_add_co_ci_u32_e32 v21, vcc_lo, 0, v21, vcc_lo
	s_delay_alu instid0(VALU_DEP_1) | instskip(NEXT) | instid1(VALU_DEP_1)
	v_add_nc_u64_e32 v[12:13], v[22:23], v[20:21]
	v_mul_u64_e32 v[16:17], s[22:23], v[12:13]
	s_delay_alu instid0(VALU_DEP_1) | instskip(NEXT) | instid1(VALU_DEP_2)
	v_sub_nc_u32_e32 v7, v18, v17
	v_sub_co_u32 v11, vcc_lo, v14, v16
	s_delay_alu instid0(VALU_DEP_1) | instskip(NEXT) | instid1(VALU_DEP_3)
	v_sub_co_ci_u32_e64 v18, null, v18, v17, vcc_lo
	v_subrev_co_ci_u32_e64 v7, null, s23, v7, vcc_lo
	s_delay_alu instid0(VALU_DEP_3) | instskip(SKIP_1) | instid1(VALU_DEP_3)
	v_sub_co_u32 v14, s2, v11, s22
	v_add_nc_u64_e32 v[16:17], 1, v[12:13]
	v_subrev_co_ci_u32_e64 v7, null, 0, v7, s2
	s_delay_alu instid0(VALU_DEP_3) | instskip(SKIP_1) | instid1(VALU_DEP_3)
	v_cmp_le_u32_e32 vcc_lo, s22, v14
	v_cndmask_b32_e64 v14, 0, -1, vcc_lo
	v_cmp_le_u32_e32 vcc_lo, s23, v7
	v_cndmask_b32_e64 v15, 0, -1, vcc_lo
	;; [unrolled: 2-line block ×4, first 2 shown]
	v_cmp_eq_u32_e32 vcc_lo, s23, v7
	v_cndmask_b32_e32 v7, v15, v14, vcc_lo
	v_cmp_eq_u32_e32 vcc_lo, s23, v18
	v_add_nc_u64_e32 v[14:15], 2, v[12:13]
	v_cndmask_b32_e32 v11, v19, v11, vcc_lo
	s_delay_alu instid0(VALU_DEP_4) | instskip(NEXT) | instid1(VALU_DEP_2)
	v_cmp_ne_u32_e32 vcc_lo, 0, v7
	v_cmp_ne_u32_e64 s2, 0, v11
	s_delay_alu instid0(VALU_DEP_4) | instskip(NEXT) | instid1(VALU_DEP_1)
	v_dual_cndmask_b32 v7, v17, v15, vcc_lo :: v_dual_cndmask_b32 v11, v16, v14, vcc_lo
	v_dual_cndmask_b32 v7, v13, v7, s2 :: v_dual_bitop2_b32 v10, s20, v10 bitop3:0x14
	s_delay_alu instid0(VALU_DEP_1) | instskip(NEXT) | instid1(VALU_DEP_2)
	v_dual_cndmask_b32 v12, v12, v11, s2 :: v_dual_mov_b32 v11, v10
	v_xor_b32_e32 v13, v7, v10
	s_delay_alu instid0(VALU_DEP_2) | instskip(NEXT) | instid1(VALU_DEP_1)
	v_xor_b32_e32 v12, v12, v10
	v_sub_nc_u64_e32 v[10:11], v[12:13], v[10:11]
.LBB13_5:                               ;   in Loop: Header=BB13_3 Depth=1
	s_and_not1_saveexec_b32 s2, s26
	s_cbranch_execz .LBB13_7
; %bb.6:                                ;   in Loop: Header=BB13_3 Depth=1
	v_cvt_f32_u32_e32 v7, s18
	s_sub_co_i32 s20, 0, s18
	s_delay_alu instid0(VALU_DEP_1) | instskip(SKIP_1) | instid1(TRANS32_DEP_1)
	v_rcp_iflag_f32_e32 v7, v7
	v_nop
	v_mul_f32_e32 v7, 0x4f7ffffe, v7
	s_delay_alu instid0(VALU_DEP_1) | instskip(NEXT) | instid1(VALU_DEP_1)
	v_cvt_u32_f32_e32 v7, v7
	v_mul_lo_u32 v10, s20, v7
	s_delay_alu instid0(VALU_DEP_1) | instskip(NEXT) | instid1(VALU_DEP_1)
	v_mul_hi_u32 v10, v7, v10
	v_add_nc_u32_e32 v7, v7, v10
	s_delay_alu instid0(VALU_DEP_1) | instskip(NEXT) | instid1(VALU_DEP_1)
	v_mul_hi_u32 v7, v8, v7
	v_mul_lo_u32 v10, v7, s18
	s_delay_alu instid0(VALU_DEP_1) | instskip(NEXT) | instid1(VALU_DEP_1)
	v_dual_add_nc_u32 v11, 1, v7 :: v_dual_sub_nc_u32 v10, v8, v10
	v_subrev_nc_u32_e32 v12, s18, v10
	v_cmp_le_u32_e32 vcc_lo, s18, v10
	s_delay_alu instid0(VALU_DEP_2) | instskip(NEXT) | instid1(VALU_DEP_1)
	v_dual_cndmask_b32 v10, v10, v12 :: v_dual_cndmask_b32 v7, v7, v11
	v_cmp_le_u32_e32 vcc_lo, s18, v10
	s_delay_alu instid0(VALU_DEP_2) | instskip(NEXT) | instid1(VALU_DEP_1)
	v_add_nc_u32_e32 v11, 1, v7
	v_dual_cndmask_b32 v10, v7, v11 :: v_dual_mov_b32 v11, v6
.LBB13_7:                               ;   in Loop: Header=BB13_3 Depth=1
	s_or_b32 exec_lo, exec_lo, s2
	s_delay_alu instid0(VALU_DEP_1)
	v_mul_u64_e32 v[12:13], s[18:19], v[10:11]
	s_load_b64 s[18:19], s[16:17], 0xc8
	s_add_co_i32 s25, s25, -1
	s_wait_xcnt 0x0
	s_add_nc_u64 s[16:17], s[16:17], -8
	s_cmp_gt_u32 s25, 2
	s_delay_alu instid0(VALU_DEP_1) | instskip(SKIP_1) | instid1(VALU_DEP_1)
	v_sub_nc_u64_e32 v[8:9], v[8:9], v[12:13]
	s_wait_kmcnt 0x0
	v_mad_nc_u64_u32 v[4:5], s18, v8, v[4:5]
	s_delay_alu instid0(VALU_DEP_1) | instskip(NEXT) | instid1(VALU_DEP_1)
	v_mad_u32 v5, s19, v8, v5
	v_mad_u32 v5, s18, v9, v5
	s_cbranch_scc0 .LBB13_10
; %bb.8:                                ;   in Loop: Header=BB13_3 Depth=1
	v_mov_b64_e32 v[8:9], v[10:11]
	s_branch .LBB13_3
.LBB13_9:
	v_mov_b64_e32 v[10:11], v[0:1]
.LBB13_10:
	v_mul_u64_e32 v[6:7], s[12:13], v[2:3]
	v_mul_u64_e32 v[8:9], s[10:11], v[2:3]
	s_clause 0x2
	s_load_b64 s[10:11], s[0:1], 0x1a8
	s_load_b32 s3, s[8:9], 0xd0
	s_load_b64 s[12:13], s[8:9], 0x0
	s_ashr_i32 s2, s24, 31
	s_wait_xcnt 0x0
	s_load_b64 s[0:1], s[0:1], 0x0
	s_wait_kmcnt 0x0
	v_mad_u32 v5, s3, v10, v4
	s_ashr_i32 s3, s5, 31
	s_delay_alu instid0(VALU_DEP_3) | instskip(SKIP_1) | instid1(VALU_DEP_4)
	v_mul_lo_u32 v3, v7, s4
	v_mov_b32_e32 v4, 0
	v_mul_lo_u32 v8, v9, s7
	s_delay_alu instid0(VALU_DEP_3) | instskip(NEXT) | instid1(VALU_DEP_3)
	v_sub_nc_u32_e32 v3, v2, v3
	v_ashrrev_i64 v[4:5], 29, v[4:5]
	s_delay_alu instid0(VALU_DEP_3) | instskip(NEXT) | instid1(VALU_DEP_3)
	v_sub_nc_u32_e32 v8, v2, v8
	v_subrev_nc_u32_e32 v9, s4, v3
	v_cmp_le_u32_e32 vcc_lo, s4, v3
	v_add_nc_u32_e32 v6, 1, v7
	v_add_nc_u64_e32 v[4:5], s[12:13], v[4:5]
	s_delay_alu instid0(VALU_DEP_4) | instskip(NEXT) | instid1(VALU_DEP_3)
	v_cndmask_b32_e32 v3, v3, v9, vcc_lo
	v_dual_cndmask_b32 v6, v7, v6, vcc_lo :: v_dual_bitop2_b32 v9, s2, v1 bitop3:0x14
	s_mov_b32 s2, s5
	global_load_b64 v[4:5], v[4:5], off
	v_cmp_le_u32_e32 vcc_lo, s4, v3
	v_add_nc_u32_e32 v7, 1, v6
	s_delay_alu instid0(VALU_DEP_1) | instskip(SKIP_4) | instid1(VALU_DEP_3)
	v_cndmask_b32_e32 v6, v6, v7, vcc_lo
	v_subrev_nc_u32_e32 v7, s7, v8
	v_cmp_le_u32_e32 vcc_lo, s7, v8
	s_wait_loadcnt 0x0
	v_mul_u64_e32 v[2:3], s[2:3], v[4:5]
	v_cndmask_b32_e32 v5, v8, v7, vcc_lo
	s_mul_i32 s2, s6, s5
	s_delay_alu instid0(VALU_DEP_1) | instskip(SKIP_2) | instid1(VALU_DEP_1)
	v_cmp_le_u32_e32 vcc_lo, s7, v5
	v_xor_b32_e32 v4, v6, v9
	v_subrev_nc_u32_e32 v6, s7, v5
	v_cndmask_b32_e32 v5, v5, v6, vcc_lo
	s_delay_alu instid0(VALU_DEP_1) | instskip(NEXT) | instid1(VALU_DEP_1)
	v_xor_b32_e32 v6, v5, v1
	v_sub_nc_u32_e32 v6, v6, v1
	s_delay_alu instid0(VALU_DEP_1) | instskip(NEXT) | instid1(VALU_DEP_1)
	v_dual_sub_nc_u32 v4, v4, v9 :: v_dual_ashrrev_i32 v7, 31, v6
	v_mul_lo_u32 v4, s2, v4
	s_delay_alu instid0(VALU_DEP_1) | instskip(NEXT) | instid1(VALU_DEP_1)
	v_ashrrev_i32_e32 v5, 31, v4
	v_lshl_add_u64 v[4:5], v[4:5], 2, s[10:11]
	s_delay_alu instid0(VALU_DEP_1) | instskip(SKIP_2) | instid1(VALU_DEP_2)
	v_lshl_add_u64 v[2:3], v[2:3], 2, v[4:5]
	v_lshl_add_u64 v[4:5], v[0:1], 2, s[0:1]
	s_mov_b32 s0, 0
	v_lshl_add_u64 v[0:1], v[6:7], 2, v[2:3]
	global_load_b32 v2, v[4:5], off
	global_load_b32 v3, v[0:1], off scope:SCOPE_SYS
	s_wait_loadcnt 0x1
	s_wait_xcnt 0x1
	v_max_num_f32_e32 v4, v2, v2
.LBB13_11:                              ; =>This Inner Loop Header: Depth=1
	s_wait_loadcnt 0x0
	v_max_num_f32_e32 v2, v3, v3
	s_delay_alu instid0(VALU_DEP_1)
	v_min_num_f32_e32 v2, v2, v4
	global_atomic_cmpswap_b32 v2, v[0:1], v[2:3], off th:TH_ATOMIC_RETURN scope:SCOPE_DEV
	s_wait_loadcnt 0x0
	v_cmp_eq_u32_e32 vcc_lo, v3, v2
	v_mov_b32_e32 v3, v2
	s_or_b32 s0, vcc_lo, s0
	s_delay_alu instid0(SALU_CYCLE_1)
	s_and_not1_b32 exec_lo, exec_lo, s0
	s_cbranch_execnz .LBB13_11
.LBB13_12:
	s_endpgm
	.section	.rodata,"a",@progbits
	.p2align	6, 0x0
	.amdhsa_kernel _Z14scatter_kernelIfL13ReductionType3EEvPKT_10TensorInfoIllEPS1_iiii
		.amdhsa_group_segment_fixed_size 0
		.amdhsa_private_segment_fixed_size 0
		.amdhsa_kernarg_size 704
		.amdhsa_user_sgpr_count 2
		.amdhsa_user_sgpr_dispatch_ptr 0
		.amdhsa_user_sgpr_queue_ptr 0
		.amdhsa_user_sgpr_kernarg_segment_ptr 1
		.amdhsa_user_sgpr_dispatch_id 0
		.amdhsa_user_sgpr_kernarg_preload_length 0
		.amdhsa_user_sgpr_kernarg_preload_offset 0
		.amdhsa_user_sgpr_private_segment_size 0
		.amdhsa_wavefront_size32 1
		.amdhsa_uses_dynamic_stack 0
		.amdhsa_enable_private_segment 0
		.amdhsa_system_sgpr_workgroup_id_x 1
		.amdhsa_system_sgpr_workgroup_id_y 0
		.amdhsa_system_sgpr_workgroup_id_z 0
		.amdhsa_system_sgpr_workgroup_info 0
		.amdhsa_system_vgpr_workitem_id 0
		.amdhsa_next_free_vgpr 24
		.amdhsa_next_free_sgpr 38
		.amdhsa_named_barrier_count 0
		.amdhsa_reserve_vcc 1
		.amdhsa_float_round_mode_32 0
		.amdhsa_float_round_mode_16_64 0
		.amdhsa_float_denorm_mode_32 3
		.amdhsa_float_denorm_mode_16_64 3
		.amdhsa_fp16_overflow 0
		.amdhsa_memory_ordered 1
		.amdhsa_forward_progress 1
		.amdhsa_inst_pref_size 13
		.amdhsa_round_robin_scheduling 0
		.amdhsa_exception_fp_ieee_invalid_op 0
		.amdhsa_exception_fp_denorm_src 0
		.amdhsa_exception_fp_ieee_div_zero 0
		.amdhsa_exception_fp_ieee_overflow 0
		.amdhsa_exception_fp_ieee_underflow 0
		.amdhsa_exception_fp_ieee_inexact 0
		.amdhsa_exception_int_div_zero 0
	.end_amdhsa_kernel
	.section	.text._Z14scatter_kernelIfL13ReductionType3EEvPKT_10TensorInfoIllEPS1_iiii,"axG",@progbits,_Z14scatter_kernelIfL13ReductionType3EEvPKT_10TensorInfoIllEPS1_iiii,comdat
.Lfunc_end13:
	.size	_Z14scatter_kernelIfL13ReductionType3EEvPKT_10TensorInfoIllEPS1_iiii, .Lfunc_end13-_Z14scatter_kernelIfL13ReductionType3EEvPKT_10TensorInfoIllEPS1_iiii
                                        ; -- End function
	.set _Z14scatter_kernelIfL13ReductionType3EEvPKT_10TensorInfoIllEPS1_iiii.num_vgpr, 24
	.set _Z14scatter_kernelIfL13ReductionType3EEvPKT_10TensorInfoIllEPS1_iiii.num_agpr, 0
	.set _Z14scatter_kernelIfL13ReductionType3EEvPKT_10TensorInfoIllEPS1_iiii.numbered_sgpr, 38
	.set _Z14scatter_kernelIfL13ReductionType3EEvPKT_10TensorInfoIllEPS1_iiii.num_named_barrier, 0
	.set _Z14scatter_kernelIfL13ReductionType3EEvPKT_10TensorInfoIllEPS1_iiii.private_seg_size, 0
	.set _Z14scatter_kernelIfL13ReductionType3EEvPKT_10TensorInfoIllEPS1_iiii.uses_vcc, 1
	.set _Z14scatter_kernelIfL13ReductionType3EEvPKT_10TensorInfoIllEPS1_iiii.uses_flat_scratch, 0
	.set _Z14scatter_kernelIfL13ReductionType3EEvPKT_10TensorInfoIllEPS1_iiii.has_dyn_sized_stack, 0
	.set _Z14scatter_kernelIfL13ReductionType3EEvPKT_10TensorInfoIllEPS1_iiii.has_recursion, 0
	.set _Z14scatter_kernelIfL13ReductionType3EEvPKT_10TensorInfoIllEPS1_iiii.has_indirect_call, 0
	.section	.AMDGPU.csdata,"",@progbits
; Kernel info:
; codeLenInByte = 1540
; TotalNumSgprs: 40
; NumVgprs: 24
; ScratchSize: 0
; MemoryBound: 0
; FloatMode: 240
; IeeeMode: 1
; LDSByteSize: 0 bytes/workgroup (compile time only)
; SGPRBlocks: 0
; VGPRBlocks: 1
; NumSGPRsForWavesPerEU: 40
; NumVGPRsForWavesPerEU: 24
; NamedBarCnt: 0
; Occupancy: 16
; WaveLimiterHint : 1
; COMPUTE_PGM_RSRC2:SCRATCH_EN: 0
; COMPUTE_PGM_RSRC2:USER_SGPR: 2
; COMPUTE_PGM_RSRC2:TRAP_HANDLER: 0
; COMPUTE_PGM_RSRC2:TGID_X_EN: 1
; COMPUTE_PGM_RSRC2:TGID_Y_EN: 0
; COMPUTE_PGM_RSRC2:TGID_Z_EN: 0
; COMPUTE_PGM_RSRC2:TIDIG_COMP_CNT: 0
	.section	.text._Z14scatter_kernelIfL13ReductionType4EEvPKT_10TensorInfoIllEPS1_iiii,"axG",@progbits,_Z14scatter_kernelIfL13ReductionType4EEvPKT_10TensorInfoIllEPS1_iiii,comdat
	.protected	_Z14scatter_kernelIfL13ReductionType4EEvPKT_10TensorInfoIllEPS1_iiii ; -- Begin function _Z14scatter_kernelIfL13ReductionType4EEvPKT_10TensorInfoIllEPS1_iiii
	.globl	_Z14scatter_kernelIfL13ReductionType4EEvPKT_10TensorInfoIllEPS1_iiii
	.p2align	8
	.type	_Z14scatter_kernelIfL13ReductionType4EEvPKT_10TensorInfoIllEPS1_iiii,@function
_Z14scatter_kernelIfL13ReductionType4EEvPKT_10TensorInfoIllEPS1_iiii: ; @_Z14scatter_kernelIfL13ReductionType4EEvPKT_10TensorInfoIllEPS1_iiii
; %bb.0:
	s_clause 0x1
	s_load_b32 s2, s[0:1], 0x1cc
	s_load_b128 s[4:7], s[0:1], 0x1b0
	s_bfe_u32 s3, ttmp6, 0x4000c
	s_and_b32 s8, ttmp6, 15
	s_add_co_i32 s3, s3, 1
	s_getreg_b32 s9, hwreg(HW_REG_IB_STS2, 6, 4)
	s_mul_i32 s3, ttmp9, s3
	s_mov_b32 s11, 0
	s_add_co_i32 s8, s8, s3
	s_wait_kmcnt 0x0
	s_and_b32 s2, s2, 0xffff
	s_cmp_eq_u32 s9, 0
	s_cselect_b32 s3, ttmp9, s8
	s_delay_alu instid0(SALU_CYCLE_1) | instskip(SKIP_1) | instid1(VALU_DEP_1)
	v_mad_u32 v0, s3, s2, v0
	s_mov_b32 s2, exec_lo
	v_cmpx_gt_i32_e64 s7, v0
	s_cbranch_execz .LBB14_12
; %bb.1:
	s_abs_i32 s7, s5
	s_mul_i32 s24, s5, s4
	s_cvt_f32_u32 s2, s7
	s_abs_i32 s4, s24
	s_load_b32 s16, s[0:1], 0x1a0
	s_cvt_f32_u32 s3, s4
	v_rcp_iflag_f32_e32 v1, s2
	s_sub_co_i32 s10, 0, s7
	s_sub_co_i32 s12, 0, s4
	v_rcp_iflag_f32_e32 v2, s3
	v_mov_b64_e32 v[4:5], 0
	s_add_nc_u64 s[8:9], s[0:1], 8
	s_mov_b32 s13, s11
	v_readfirstlane_b32 s2, v1
	v_dual_mov_b32 v6, 0 :: v_dual_sub_nc_u32 v1, 0, v0
	s_delay_alu instid0(TRANS32_DEP_1) | instskip(SKIP_3) | instid1(SALU_CYCLE_1)
	v_readfirstlane_b32 s3, v2
	s_mul_f32 s2, s2, 0x4f7ffffe
	v_dual_mov_b32 v3, v6 :: v_dual_max_i32 v2, v0, v1
	s_mul_f32 s3, s3, 0x4f7ffffe
	s_cvt_u32_f32 s2, s2
	v_ashrrev_i32_e32 v1, 31, v0
	s_delay_alu instid0(SALU_CYCLE_1) | instskip(NEXT) | instid1(SALU_CYCLE_1)
	s_cvt_u32_f32 s3, s3
	s_mul_i32 s10, s10, s2
	s_delay_alu instid0(SALU_CYCLE_1) | instskip(NEXT) | instid1(SALU_CYCLE_1)
	s_mul_hi_u32 s10, s2, s10
	s_mul_i32 s12, s12, s3
	s_add_co_i32 s10, s2, s10
	s_mul_hi_u32 s2, s3, s12
	s_delay_alu instid0(SALU_CYCLE_1)
	s_add_co_i32 s12, s3, s2
	s_wait_kmcnt 0x0
	s_cmp_lt_i32 s16, 2
	s_cbranch_scc1 .LBB14_9
; %bb.2:
	s_add_co_i32 s2, s16, -1
	s_mov_b32 s3, 0
	v_mov_b64_e32 v[4:5], 0
	v_mov_b64_e32 v[8:9], v[0:1]
	s_lshl_b64 s[18:19], s[2:3], 3
	s_mov_b64 s[14:15], 0xffffffff
	s_add_nc_u64 s[18:19], s[8:9], s[18:19]
	s_add_co_i32 s25, s16, 1
	s_add_nc_u64 s[16:17], s[18:19], 8
.LBB14_3:                               ; =>This Inner Loop Header: Depth=1
	s_load_b64 s[18:19], s[16:17], 0x0
                                        ; implicit-def: $vgpr10_vgpr11
	s_mov_b32 s2, exec_lo
	s_wait_kmcnt 0x0
	s_delay_alu instid0(VALU_DEP_1) | instskip(NEXT) | instid1(VALU_DEP_1)
	v_or_b32_e32 v7, s19, v9
	v_cmpx_ne_u64_e32 0, v[6:7]
	s_xor_b32 s26, exec_lo, s2
	s_cbranch_execz .LBB14_5
; %bb.4:                                ;   in Loop: Header=BB14_3 Depth=1
	s_ashr_i32 s20, s19, 31
	v_dual_mov_b32 v15, v6 :: v_dual_ashrrev_i32 v10, 31, v9
	s_mov_b32 s21, s20
	v_mov_b32_e32 v23, v6
	s_add_nc_u64 s[22:23], s[18:19], s[20:21]
	s_delay_alu instid0(VALU_DEP_2) | instskip(SKIP_1) | instid1(SALU_CYCLE_1)
	v_mov_b32_e32 v11, v10
	s_xor_b64 s[22:23], s[22:23], s[20:21]
	s_cvt_f32_u32 s2, s22
	s_cvt_f32_u32 s21, s23
	s_sub_nc_u64 s[30:31], 0, s[22:23]
	v_add_nc_u64_e32 v[12:13], v[8:9], v[10:11]
	v_mov_b32_e32 v19, v6
	s_fmamk_f32 s2, s21, 0x4f800000, s2
	s_delay_alu instid0(SALU_CYCLE_3) | instskip(NEXT) | instid1(VALU_DEP_2)
	v_s_rcp_f32 s2, s2
	v_xor_b32_e32 v14, v12, v10
	s_delay_alu instid0(VALU_DEP_3) | instskip(NEXT) | instid1(TRANS32_DEP_1)
	v_xor_b32_e32 v18, v13, v10
	s_mul_f32 s2, s2, 0x5f7ffffc
	s_delay_alu instid0(SALU_CYCLE_3) | instskip(NEXT) | instid1(SALU_CYCLE_3)
	s_mul_f32 s21, s2, 0x2f800000
	s_trunc_f32 s21, s21
	s_delay_alu instid0(SALU_CYCLE_3) | instskip(SKIP_1) | instid1(SALU_CYCLE_2)
	s_fmamk_f32 s2, s21, 0xcf800000, s2
	s_cvt_u32_f32 s29, s21
	s_cvt_u32_f32 s28, s2
	s_delay_alu instid0(SALU_CYCLE_3) | instskip(NEXT) | instid1(SALU_CYCLE_1)
	s_mul_u64 s[34:35], s[30:31], s[28:29]
	s_mul_hi_u32 s37, s28, s35
	s_mul_i32 s36, s28, s35
	s_mul_hi_u32 s2, s28, s34
	s_mul_i32 s27, s29, s34
	s_add_nc_u64 s[36:37], s[2:3], s[36:37]
	s_mul_hi_u32 s21, s29, s34
	s_mul_hi_u32 s33, s29, s35
	s_add_co_u32 s2, s36, s27
	s_add_co_ci_u32 s2, s37, s21
	s_mul_i32 s34, s29, s35
	s_add_co_ci_u32 s35, s33, 0
	s_delay_alu instid0(SALU_CYCLE_1) | instskip(NEXT) | instid1(SALU_CYCLE_1)
	s_add_nc_u64 s[34:35], s[2:3], s[34:35]
	s_add_co_u32 s28, s28, s34
	s_cselect_b32 s2, -1, 0
	s_delay_alu instid0(SALU_CYCLE_1) | instskip(SKIP_1) | instid1(SALU_CYCLE_1)
	s_cmp_lg_u32 s2, 0
	s_add_co_ci_u32 s29, s29, s35
	s_mul_u64 s[30:31], s[30:31], s[28:29]
	s_delay_alu instid0(SALU_CYCLE_1)
	s_mul_hi_u32 s35, s28, s31
	s_mul_i32 s34, s28, s31
	s_mul_hi_u32 s2, s28, s30
	s_mul_i32 s27, s29, s30
	s_add_nc_u64 s[34:35], s[2:3], s[34:35]
	s_mul_hi_u32 s21, s29, s30
	s_mul_hi_u32 s33, s29, s31
	s_add_co_u32 s2, s34, s27
	s_add_co_ci_u32 s2, s35, s21
	s_mul_i32 s30, s29, s31
	s_add_co_ci_u32 s31, s33, 0
	s_delay_alu instid0(SALU_CYCLE_1) | instskip(NEXT) | instid1(SALU_CYCLE_1)
	s_add_nc_u64 s[30:31], s[2:3], s[30:31]
	s_add_co_u32 s28, s28, s30
	s_cselect_b32 s2, -1, 0
	v_mul_hi_u32 v22, v14, s28
	s_cmp_lg_u32 s2, 0
	s_add_co_ci_u32 s2, s29, s31
	s_and_b64 s[30:31], s[28:29], s[14:15]
	v_mul_u64_e32 v[16:17], s[2:3], v[14:15]
	v_mul_u64_e32 v[12:13], s[30:31], v[18:19]
	;; [unrolled: 1-line block ×3, first 2 shown]
	s_delay_alu instid0(VALU_DEP_3) | instskip(NEXT) | instid1(VALU_DEP_1)
	v_add_nc_u64_e32 v[16:17], v[22:23], v[16:17]
	v_add_co_u32 v7, vcc_lo, v16, v12
	s_delay_alu instid0(VALU_DEP_2) | instskip(NEXT) | instid1(VALU_DEP_4)
	v_add_co_ci_u32_e32 v22, vcc_lo, v17, v13, vcc_lo
	v_add_co_ci_u32_e32 v21, vcc_lo, 0, v21, vcc_lo
	s_delay_alu instid0(VALU_DEP_1) | instskip(NEXT) | instid1(VALU_DEP_1)
	v_add_nc_u64_e32 v[12:13], v[22:23], v[20:21]
	v_mul_u64_e32 v[16:17], s[22:23], v[12:13]
	s_delay_alu instid0(VALU_DEP_1) | instskip(NEXT) | instid1(VALU_DEP_2)
	v_sub_nc_u32_e32 v7, v18, v17
	v_sub_co_u32 v11, vcc_lo, v14, v16
	s_delay_alu instid0(VALU_DEP_1) | instskip(NEXT) | instid1(VALU_DEP_3)
	v_sub_co_ci_u32_e64 v18, null, v18, v17, vcc_lo
	v_subrev_co_ci_u32_e64 v7, null, s23, v7, vcc_lo
	s_delay_alu instid0(VALU_DEP_3) | instskip(SKIP_1) | instid1(VALU_DEP_3)
	v_sub_co_u32 v14, s2, v11, s22
	v_add_nc_u64_e32 v[16:17], 1, v[12:13]
	v_subrev_co_ci_u32_e64 v7, null, 0, v7, s2
	s_delay_alu instid0(VALU_DEP_3) | instskip(SKIP_1) | instid1(VALU_DEP_3)
	v_cmp_le_u32_e32 vcc_lo, s22, v14
	v_cndmask_b32_e64 v14, 0, -1, vcc_lo
	v_cmp_le_u32_e32 vcc_lo, s23, v7
	v_cndmask_b32_e64 v15, 0, -1, vcc_lo
	;; [unrolled: 2-line block ×4, first 2 shown]
	v_cmp_eq_u32_e32 vcc_lo, s23, v7
	v_cndmask_b32_e32 v7, v15, v14, vcc_lo
	v_cmp_eq_u32_e32 vcc_lo, s23, v18
	v_add_nc_u64_e32 v[14:15], 2, v[12:13]
	v_cndmask_b32_e32 v11, v19, v11, vcc_lo
	s_delay_alu instid0(VALU_DEP_4) | instskip(NEXT) | instid1(VALU_DEP_2)
	v_cmp_ne_u32_e32 vcc_lo, 0, v7
	v_cmp_ne_u32_e64 s2, 0, v11
	s_delay_alu instid0(VALU_DEP_4) | instskip(NEXT) | instid1(VALU_DEP_1)
	v_dual_cndmask_b32 v7, v17, v15, vcc_lo :: v_dual_cndmask_b32 v11, v16, v14, vcc_lo
	v_dual_cndmask_b32 v7, v13, v7, s2 :: v_dual_bitop2_b32 v10, s20, v10 bitop3:0x14
	s_delay_alu instid0(VALU_DEP_1) | instskip(NEXT) | instid1(VALU_DEP_2)
	v_dual_cndmask_b32 v12, v12, v11, s2 :: v_dual_mov_b32 v11, v10
	v_xor_b32_e32 v13, v7, v10
	s_delay_alu instid0(VALU_DEP_2) | instskip(NEXT) | instid1(VALU_DEP_1)
	v_xor_b32_e32 v12, v12, v10
	v_sub_nc_u64_e32 v[10:11], v[12:13], v[10:11]
.LBB14_5:                               ;   in Loop: Header=BB14_3 Depth=1
	s_and_not1_saveexec_b32 s2, s26
	s_cbranch_execz .LBB14_7
; %bb.6:                                ;   in Loop: Header=BB14_3 Depth=1
	v_cvt_f32_u32_e32 v7, s18
	s_sub_co_i32 s20, 0, s18
	s_delay_alu instid0(VALU_DEP_1) | instskip(SKIP_1) | instid1(TRANS32_DEP_1)
	v_rcp_iflag_f32_e32 v7, v7
	v_nop
	v_mul_f32_e32 v7, 0x4f7ffffe, v7
	s_delay_alu instid0(VALU_DEP_1) | instskip(NEXT) | instid1(VALU_DEP_1)
	v_cvt_u32_f32_e32 v7, v7
	v_mul_lo_u32 v10, s20, v7
	s_delay_alu instid0(VALU_DEP_1) | instskip(NEXT) | instid1(VALU_DEP_1)
	v_mul_hi_u32 v10, v7, v10
	v_add_nc_u32_e32 v7, v7, v10
	s_delay_alu instid0(VALU_DEP_1) | instskip(NEXT) | instid1(VALU_DEP_1)
	v_mul_hi_u32 v7, v8, v7
	v_mul_lo_u32 v10, v7, s18
	s_delay_alu instid0(VALU_DEP_1) | instskip(NEXT) | instid1(VALU_DEP_1)
	v_dual_add_nc_u32 v11, 1, v7 :: v_dual_sub_nc_u32 v10, v8, v10
	v_subrev_nc_u32_e32 v12, s18, v10
	v_cmp_le_u32_e32 vcc_lo, s18, v10
	s_delay_alu instid0(VALU_DEP_2) | instskip(NEXT) | instid1(VALU_DEP_1)
	v_dual_cndmask_b32 v10, v10, v12 :: v_dual_cndmask_b32 v7, v7, v11
	v_cmp_le_u32_e32 vcc_lo, s18, v10
	s_delay_alu instid0(VALU_DEP_2) | instskip(NEXT) | instid1(VALU_DEP_1)
	v_add_nc_u32_e32 v11, 1, v7
	v_dual_cndmask_b32 v10, v7, v11 :: v_dual_mov_b32 v11, v6
.LBB14_7:                               ;   in Loop: Header=BB14_3 Depth=1
	s_or_b32 exec_lo, exec_lo, s2
	s_delay_alu instid0(VALU_DEP_1)
	v_mul_u64_e32 v[12:13], s[18:19], v[10:11]
	s_load_b64 s[18:19], s[16:17], 0xc8
	s_add_co_i32 s25, s25, -1
	s_wait_xcnt 0x0
	s_add_nc_u64 s[16:17], s[16:17], -8
	s_cmp_gt_u32 s25, 2
	s_delay_alu instid0(VALU_DEP_1) | instskip(SKIP_1) | instid1(VALU_DEP_1)
	v_sub_nc_u64_e32 v[8:9], v[8:9], v[12:13]
	s_wait_kmcnt 0x0
	v_mad_nc_u64_u32 v[4:5], s18, v8, v[4:5]
	s_delay_alu instid0(VALU_DEP_1) | instskip(NEXT) | instid1(VALU_DEP_1)
	v_mad_u32 v5, s19, v8, v5
	v_mad_u32 v5, s18, v9, v5
	s_cbranch_scc0 .LBB14_10
; %bb.8:                                ;   in Loop: Header=BB14_3 Depth=1
	v_mov_b64_e32 v[8:9], v[10:11]
	s_branch .LBB14_3
.LBB14_9:
	v_mov_b64_e32 v[10:11], v[0:1]
.LBB14_10:
	v_mul_u64_e32 v[6:7], s[12:13], v[2:3]
	v_mul_u64_e32 v[8:9], s[10:11], v[2:3]
	s_clause 0x2
	s_load_b64 s[10:11], s[0:1], 0x1a8
	s_load_b32 s3, s[8:9], 0xd0
	s_load_b64 s[12:13], s[8:9], 0x0
	s_ashr_i32 s2, s24, 31
	s_wait_xcnt 0x0
	s_load_b64 s[0:1], s[0:1], 0x0
	s_wait_kmcnt 0x0
	v_mad_u32 v5, s3, v10, v4
	s_ashr_i32 s3, s5, 31
	s_delay_alu instid0(VALU_DEP_3) | instskip(SKIP_1) | instid1(VALU_DEP_4)
	v_mul_lo_u32 v3, v7, s4
	v_mov_b32_e32 v4, 0
	v_mul_lo_u32 v8, v9, s7
	s_delay_alu instid0(VALU_DEP_3) | instskip(NEXT) | instid1(VALU_DEP_3)
	v_sub_nc_u32_e32 v3, v2, v3
	v_ashrrev_i64 v[4:5], 29, v[4:5]
	s_delay_alu instid0(VALU_DEP_3) | instskip(NEXT) | instid1(VALU_DEP_3)
	v_sub_nc_u32_e32 v8, v2, v8
	v_subrev_nc_u32_e32 v9, s4, v3
	v_cmp_le_u32_e32 vcc_lo, s4, v3
	v_add_nc_u32_e32 v6, 1, v7
	v_add_nc_u64_e32 v[4:5], s[12:13], v[4:5]
	s_delay_alu instid0(VALU_DEP_4) | instskip(NEXT) | instid1(VALU_DEP_3)
	v_cndmask_b32_e32 v3, v3, v9, vcc_lo
	v_dual_cndmask_b32 v6, v7, v6, vcc_lo :: v_dual_bitop2_b32 v9, s2, v1 bitop3:0x14
	s_mov_b32 s2, s5
	global_load_b64 v[4:5], v[4:5], off
	v_cmp_le_u32_e32 vcc_lo, s4, v3
	v_add_nc_u32_e32 v7, 1, v6
	s_delay_alu instid0(VALU_DEP_1) | instskip(SKIP_4) | instid1(VALU_DEP_3)
	v_cndmask_b32_e32 v6, v6, v7, vcc_lo
	v_subrev_nc_u32_e32 v7, s7, v8
	v_cmp_le_u32_e32 vcc_lo, s7, v8
	s_wait_loadcnt 0x0
	v_mul_u64_e32 v[2:3], s[2:3], v[4:5]
	v_cndmask_b32_e32 v5, v8, v7, vcc_lo
	s_mul_i32 s2, s6, s5
	s_delay_alu instid0(VALU_DEP_1) | instskip(SKIP_2) | instid1(VALU_DEP_1)
	v_cmp_le_u32_e32 vcc_lo, s7, v5
	v_xor_b32_e32 v4, v6, v9
	v_subrev_nc_u32_e32 v6, s7, v5
	v_cndmask_b32_e32 v5, v5, v6, vcc_lo
	s_delay_alu instid0(VALU_DEP_1) | instskip(NEXT) | instid1(VALU_DEP_1)
	v_xor_b32_e32 v6, v5, v1
	v_sub_nc_u32_e32 v6, v6, v1
	s_delay_alu instid0(VALU_DEP_1) | instskip(NEXT) | instid1(VALU_DEP_1)
	v_dual_sub_nc_u32 v4, v4, v9 :: v_dual_ashrrev_i32 v7, 31, v6
	v_mul_lo_u32 v4, s2, v4
	s_delay_alu instid0(VALU_DEP_1) | instskip(NEXT) | instid1(VALU_DEP_1)
	v_ashrrev_i32_e32 v5, 31, v4
	v_lshl_add_u64 v[4:5], v[4:5], 2, s[10:11]
	s_delay_alu instid0(VALU_DEP_1) | instskip(SKIP_2) | instid1(VALU_DEP_2)
	v_lshl_add_u64 v[2:3], v[2:3], 2, v[4:5]
	v_lshl_add_u64 v[4:5], v[0:1], 2, s[0:1]
	s_mov_b32 s0, 0
	v_lshl_add_u64 v[0:1], v[6:7], 2, v[2:3]
	global_load_b32 v2, v[4:5], off
	global_load_b32 v3, v[0:1], off scope:SCOPE_SYS
	s_wait_loadcnt 0x1
	s_wait_xcnt 0x1
	v_max_num_f32_e32 v4, v2, v2
.LBB14_11:                              ; =>This Inner Loop Header: Depth=1
	s_wait_loadcnt 0x0
	v_max_num_f32_e32 v2, v3, v3
	s_delay_alu instid0(VALU_DEP_1)
	v_max_num_f32_e32 v2, v2, v4
	global_atomic_cmpswap_b32 v2, v[0:1], v[2:3], off th:TH_ATOMIC_RETURN scope:SCOPE_DEV
	s_wait_loadcnt 0x0
	v_cmp_eq_u32_e32 vcc_lo, v3, v2
	v_mov_b32_e32 v3, v2
	s_or_b32 s0, vcc_lo, s0
	s_delay_alu instid0(SALU_CYCLE_1)
	s_and_not1_b32 exec_lo, exec_lo, s0
	s_cbranch_execnz .LBB14_11
.LBB14_12:
	s_endpgm
	.section	.rodata,"a",@progbits
	.p2align	6, 0x0
	.amdhsa_kernel _Z14scatter_kernelIfL13ReductionType4EEvPKT_10TensorInfoIllEPS1_iiii
		.amdhsa_group_segment_fixed_size 0
		.amdhsa_private_segment_fixed_size 0
		.amdhsa_kernarg_size 704
		.amdhsa_user_sgpr_count 2
		.amdhsa_user_sgpr_dispatch_ptr 0
		.amdhsa_user_sgpr_queue_ptr 0
		.amdhsa_user_sgpr_kernarg_segment_ptr 1
		.amdhsa_user_sgpr_dispatch_id 0
		.amdhsa_user_sgpr_kernarg_preload_length 0
		.amdhsa_user_sgpr_kernarg_preload_offset 0
		.amdhsa_user_sgpr_private_segment_size 0
		.amdhsa_wavefront_size32 1
		.amdhsa_uses_dynamic_stack 0
		.amdhsa_enable_private_segment 0
		.amdhsa_system_sgpr_workgroup_id_x 1
		.amdhsa_system_sgpr_workgroup_id_y 0
		.amdhsa_system_sgpr_workgroup_id_z 0
		.amdhsa_system_sgpr_workgroup_info 0
		.amdhsa_system_vgpr_workitem_id 0
		.amdhsa_next_free_vgpr 24
		.amdhsa_next_free_sgpr 38
		.amdhsa_named_barrier_count 0
		.amdhsa_reserve_vcc 1
		.amdhsa_float_round_mode_32 0
		.amdhsa_float_round_mode_16_64 0
		.amdhsa_float_denorm_mode_32 3
		.amdhsa_float_denorm_mode_16_64 3
		.amdhsa_fp16_overflow 0
		.amdhsa_memory_ordered 1
		.amdhsa_forward_progress 1
		.amdhsa_inst_pref_size 13
		.amdhsa_round_robin_scheduling 0
		.amdhsa_exception_fp_ieee_invalid_op 0
		.amdhsa_exception_fp_denorm_src 0
		.amdhsa_exception_fp_ieee_div_zero 0
		.amdhsa_exception_fp_ieee_overflow 0
		.amdhsa_exception_fp_ieee_underflow 0
		.amdhsa_exception_fp_ieee_inexact 0
		.amdhsa_exception_int_div_zero 0
	.end_amdhsa_kernel
	.section	.text._Z14scatter_kernelIfL13ReductionType4EEvPKT_10TensorInfoIllEPS1_iiii,"axG",@progbits,_Z14scatter_kernelIfL13ReductionType4EEvPKT_10TensorInfoIllEPS1_iiii,comdat
.Lfunc_end14:
	.size	_Z14scatter_kernelIfL13ReductionType4EEvPKT_10TensorInfoIllEPS1_iiii, .Lfunc_end14-_Z14scatter_kernelIfL13ReductionType4EEvPKT_10TensorInfoIllEPS1_iiii
                                        ; -- End function
	.set _Z14scatter_kernelIfL13ReductionType4EEvPKT_10TensorInfoIllEPS1_iiii.num_vgpr, 24
	.set _Z14scatter_kernelIfL13ReductionType4EEvPKT_10TensorInfoIllEPS1_iiii.num_agpr, 0
	.set _Z14scatter_kernelIfL13ReductionType4EEvPKT_10TensorInfoIllEPS1_iiii.numbered_sgpr, 38
	.set _Z14scatter_kernelIfL13ReductionType4EEvPKT_10TensorInfoIllEPS1_iiii.num_named_barrier, 0
	.set _Z14scatter_kernelIfL13ReductionType4EEvPKT_10TensorInfoIllEPS1_iiii.private_seg_size, 0
	.set _Z14scatter_kernelIfL13ReductionType4EEvPKT_10TensorInfoIllEPS1_iiii.uses_vcc, 1
	.set _Z14scatter_kernelIfL13ReductionType4EEvPKT_10TensorInfoIllEPS1_iiii.uses_flat_scratch, 0
	.set _Z14scatter_kernelIfL13ReductionType4EEvPKT_10TensorInfoIllEPS1_iiii.has_dyn_sized_stack, 0
	.set _Z14scatter_kernelIfL13ReductionType4EEvPKT_10TensorInfoIllEPS1_iiii.has_recursion, 0
	.set _Z14scatter_kernelIfL13ReductionType4EEvPKT_10TensorInfoIllEPS1_iiii.has_indirect_call, 0
	.section	.AMDGPU.csdata,"",@progbits
; Kernel info:
; codeLenInByte = 1540
; TotalNumSgprs: 40
; NumVgprs: 24
; ScratchSize: 0
; MemoryBound: 0
; FloatMode: 240
; IeeeMode: 1
; LDSByteSize: 0 bytes/workgroup (compile time only)
; SGPRBlocks: 0
; VGPRBlocks: 1
; NumSGPRsForWavesPerEU: 40
; NumVGPRsForWavesPerEU: 24
; NamedBarCnt: 0
; Occupancy: 16
; WaveLimiterHint : 1
; COMPUTE_PGM_RSRC2:SCRATCH_EN: 0
; COMPUTE_PGM_RSRC2:USER_SGPR: 2
; COMPUTE_PGM_RSRC2:TRAP_HANDLER: 0
; COMPUTE_PGM_RSRC2:TGID_X_EN: 1
; COMPUTE_PGM_RSRC2:TGID_Y_EN: 0
; COMPUTE_PGM_RSRC2:TGID_Z_EN: 0
; COMPUTE_PGM_RSRC2:TIDIG_COMP_CNT: 0
	.section	.text._Z14scatter_kernelIdL13ReductionType1EEvPKT_10TensorInfoIllEPS1_iiii,"axG",@progbits,_Z14scatter_kernelIdL13ReductionType1EEvPKT_10TensorInfoIllEPS1_iiii,comdat
	.protected	_Z14scatter_kernelIdL13ReductionType1EEvPKT_10TensorInfoIllEPS1_iiii ; -- Begin function _Z14scatter_kernelIdL13ReductionType1EEvPKT_10TensorInfoIllEPS1_iiii
	.globl	_Z14scatter_kernelIdL13ReductionType1EEvPKT_10TensorInfoIllEPS1_iiii
	.p2align	8
	.type	_Z14scatter_kernelIdL13ReductionType1EEvPKT_10TensorInfoIllEPS1_iiii,@function
_Z14scatter_kernelIdL13ReductionType1EEvPKT_10TensorInfoIllEPS1_iiii: ; @_Z14scatter_kernelIdL13ReductionType1EEvPKT_10TensorInfoIllEPS1_iiii
; %bb.0:
	s_clause 0x1
	s_load_b32 s2, s[0:1], 0x1cc
	s_load_b128 s[4:7], s[0:1], 0x1b0
	s_bfe_u32 s3, ttmp6, 0x4000c
	s_and_b32 s8, ttmp6, 15
	s_add_co_i32 s3, s3, 1
	s_getreg_b32 s9, hwreg(HW_REG_IB_STS2, 6, 4)
	s_mul_i32 s3, ttmp9, s3
	s_mov_b32 s11, 0
	s_add_co_i32 s8, s8, s3
	s_wait_kmcnt 0x0
	s_and_b32 s2, s2, 0xffff
	s_cmp_eq_u32 s9, 0
	s_cselect_b32 s3, ttmp9, s8
	s_delay_alu instid0(SALU_CYCLE_1) | instskip(SKIP_1) | instid1(VALU_DEP_1)
	v_mad_u32 v0, s3, s2, v0
	s_mov_b32 s2, exec_lo
	v_cmpx_gt_i32_e64 s7, v0
	s_cbranch_execz .LBB15_12
; %bb.1:
	s_abs_i32 s7, s5
	s_mul_i32 s24, s5, s4
	s_cvt_f32_u32 s2, s7
	s_abs_i32 s4, s24
	s_load_b32 s16, s[0:1], 0x1a0
	s_cvt_f32_u32 s3, s4
	v_rcp_iflag_f32_e32 v1, s2
	s_sub_co_i32 s10, 0, s7
	s_sub_co_i32 s12, 0, s4
	v_rcp_iflag_f32_e32 v2, s3
	v_mov_b64_e32 v[4:5], 0
	s_add_nc_u64 s[8:9], s[0:1], 8
	s_mov_b32 s13, s11
	v_readfirstlane_b32 s2, v1
	v_dual_mov_b32 v6, 0 :: v_dual_sub_nc_u32 v1, 0, v0
	s_delay_alu instid0(TRANS32_DEP_1) | instskip(SKIP_3) | instid1(SALU_CYCLE_1)
	v_readfirstlane_b32 s3, v2
	s_mul_f32 s2, s2, 0x4f7ffffe
	v_dual_mov_b32 v3, v6 :: v_dual_max_i32 v2, v0, v1
	s_mul_f32 s3, s3, 0x4f7ffffe
	s_cvt_u32_f32 s2, s2
	v_ashrrev_i32_e32 v1, 31, v0
	s_delay_alu instid0(SALU_CYCLE_1) | instskip(NEXT) | instid1(SALU_CYCLE_1)
	s_cvt_u32_f32 s3, s3
	s_mul_i32 s10, s10, s2
	s_delay_alu instid0(SALU_CYCLE_1) | instskip(NEXT) | instid1(SALU_CYCLE_1)
	s_mul_hi_u32 s10, s2, s10
	s_mul_i32 s12, s12, s3
	s_add_co_i32 s10, s2, s10
	s_mul_hi_u32 s2, s3, s12
	s_delay_alu instid0(SALU_CYCLE_1)
	s_add_co_i32 s12, s3, s2
	s_wait_kmcnt 0x0
	s_cmp_lt_i32 s16, 2
	s_cbranch_scc1 .LBB15_9
; %bb.2:
	s_add_co_i32 s2, s16, -1
	s_mov_b32 s3, 0
	v_mov_b64_e32 v[4:5], 0
	v_mov_b64_e32 v[8:9], v[0:1]
	s_lshl_b64 s[18:19], s[2:3], 3
	s_mov_b64 s[14:15], 0xffffffff
	s_add_nc_u64 s[18:19], s[8:9], s[18:19]
	s_add_co_i32 s25, s16, 1
	s_add_nc_u64 s[16:17], s[18:19], 8
.LBB15_3:                               ; =>This Inner Loop Header: Depth=1
	s_load_b64 s[18:19], s[16:17], 0x0
                                        ; implicit-def: $vgpr10_vgpr11
	s_mov_b32 s2, exec_lo
	s_wait_kmcnt 0x0
	s_delay_alu instid0(VALU_DEP_1) | instskip(NEXT) | instid1(VALU_DEP_1)
	v_or_b32_e32 v7, s19, v9
	v_cmpx_ne_u64_e32 0, v[6:7]
	s_xor_b32 s26, exec_lo, s2
	s_cbranch_execz .LBB15_5
; %bb.4:                                ;   in Loop: Header=BB15_3 Depth=1
	s_ashr_i32 s20, s19, 31
	v_dual_mov_b32 v15, v6 :: v_dual_ashrrev_i32 v10, 31, v9
	s_mov_b32 s21, s20
	v_mov_b32_e32 v23, v6
	s_add_nc_u64 s[22:23], s[18:19], s[20:21]
	s_delay_alu instid0(VALU_DEP_2) | instskip(SKIP_1) | instid1(SALU_CYCLE_1)
	v_mov_b32_e32 v11, v10
	s_xor_b64 s[22:23], s[22:23], s[20:21]
	s_cvt_f32_u32 s2, s22
	s_cvt_f32_u32 s21, s23
	s_sub_nc_u64 s[30:31], 0, s[22:23]
	v_add_nc_u64_e32 v[12:13], v[8:9], v[10:11]
	v_mov_b32_e32 v19, v6
	s_fmamk_f32 s2, s21, 0x4f800000, s2
	s_delay_alu instid0(SALU_CYCLE_3) | instskip(NEXT) | instid1(VALU_DEP_2)
	v_s_rcp_f32 s2, s2
	v_xor_b32_e32 v14, v12, v10
	s_delay_alu instid0(VALU_DEP_3) | instskip(NEXT) | instid1(TRANS32_DEP_1)
	v_xor_b32_e32 v18, v13, v10
	s_mul_f32 s2, s2, 0x5f7ffffc
	s_delay_alu instid0(SALU_CYCLE_3) | instskip(NEXT) | instid1(SALU_CYCLE_3)
	s_mul_f32 s21, s2, 0x2f800000
	s_trunc_f32 s21, s21
	s_delay_alu instid0(SALU_CYCLE_3) | instskip(SKIP_1) | instid1(SALU_CYCLE_2)
	s_fmamk_f32 s2, s21, 0xcf800000, s2
	s_cvt_u32_f32 s29, s21
	s_cvt_u32_f32 s28, s2
	s_delay_alu instid0(SALU_CYCLE_3) | instskip(NEXT) | instid1(SALU_CYCLE_1)
	s_mul_u64 s[34:35], s[30:31], s[28:29]
	s_mul_hi_u32 s37, s28, s35
	s_mul_i32 s36, s28, s35
	s_mul_hi_u32 s2, s28, s34
	s_mul_i32 s27, s29, s34
	s_add_nc_u64 s[36:37], s[2:3], s[36:37]
	s_mul_hi_u32 s21, s29, s34
	s_mul_hi_u32 s33, s29, s35
	s_add_co_u32 s2, s36, s27
	s_add_co_ci_u32 s2, s37, s21
	s_mul_i32 s34, s29, s35
	s_add_co_ci_u32 s35, s33, 0
	s_delay_alu instid0(SALU_CYCLE_1) | instskip(NEXT) | instid1(SALU_CYCLE_1)
	s_add_nc_u64 s[34:35], s[2:3], s[34:35]
	s_add_co_u32 s28, s28, s34
	s_cselect_b32 s2, -1, 0
	s_delay_alu instid0(SALU_CYCLE_1) | instskip(SKIP_1) | instid1(SALU_CYCLE_1)
	s_cmp_lg_u32 s2, 0
	s_add_co_ci_u32 s29, s29, s35
	s_mul_u64 s[30:31], s[30:31], s[28:29]
	s_delay_alu instid0(SALU_CYCLE_1)
	s_mul_hi_u32 s35, s28, s31
	s_mul_i32 s34, s28, s31
	s_mul_hi_u32 s2, s28, s30
	s_mul_i32 s27, s29, s30
	s_add_nc_u64 s[34:35], s[2:3], s[34:35]
	s_mul_hi_u32 s21, s29, s30
	s_mul_hi_u32 s33, s29, s31
	s_add_co_u32 s2, s34, s27
	s_add_co_ci_u32 s2, s35, s21
	s_mul_i32 s30, s29, s31
	s_add_co_ci_u32 s31, s33, 0
	s_delay_alu instid0(SALU_CYCLE_1) | instskip(NEXT) | instid1(SALU_CYCLE_1)
	s_add_nc_u64 s[30:31], s[2:3], s[30:31]
	s_add_co_u32 s28, s28, s30
	s_cselect_b32 s2, -1, 0
	v_mul_hi_u32 v22, v14, s28
	s_cmp_lg_u32 s2, 0
	s_add_co_ci_u32 s2, s29, s31
	s_and_b64 s[30:31], s[28:29], s[14:15]
	v_mul_u64_e32 v[16:17], s[2:3], v[14:15]
	v_mul_u64_e32 v[12:13], s[30:31], v[18:19]
	;; [unrolled: 1-line block ×3, first 2 shown]
	s_delay_alu instid0(VALU_DEP_3) | instskip(NEXT) | instid1(VALU_DEP_1)
	v_add_nc_u64_e32 v[16:17], v[22:23], v[16:17]
	v_add_co_u32 v7, vcc_lo, v16, v12
	s_delay_alu instid0(VALU_DEP_2) | instskip(NEXT) | instid1(VALU_DEP_4)
	v_add_co_ci_u32_e32 v22, vcc_lo, v17, v13, vcc_lo
	v_add_co_ci_u32_e32 v21, vcc_lo, 0, v21, vcc_lo
	s_delay_alu instid0(VALU_DEP_1) | instskip(NEXT) | instid1(VALU_DEP_1)
	v_add_nc_u64_e32 v[12:13], v[22:23], v[20:21]
	v_mul_u64_e32 v[16:17], s[22:23], v[12:13]
	s_delay_alu instid0(VALU_DEP_1) | instskip(NEXT) | instid1(VALU_DEP_2)
	v_sub_nc_u32_e32 v7, v18, v17
	v_sub_co_u32 v11, vcc_lo, v14, v16
	s_delay_alu instid0(VALU_DEP_1) | instskip(NEXT) | instid1(VALU_DEP_3)
	v_sub_co_ci_u32_e64 v18, null, v18, v17, vcc_lo
	v_subrev_co_ci_u32_e64 v7, null, s23, v7, vcc_lo
	s_delay_alu instid0(VALU_DEP_3) | instskip(SKIP_1) | instid1(VALU_DEP_3)
	v_sub_co_u32 v14, s2, v11, s22
	v_add_nc_u64_e32 v[16:17], 1, v[12:13]
	v_subrev_co_ci_u32_e64 v7, null, 0, v7, s2
	s_delay_alu instid0(VALU_DEP_3) | instskip(SKIP_1) | instid1(VALU_DEP_3)
	v_cmp_le_u32_e32 vcc_lo, s22, v14
	v_cndmask_b32_e64 v14, 0, -1, vcc_lo
	v_cmp_le_u32_e32 vcc_lo, s23, v7
	v_cndmask_b32_e64 v15, 0, -1, vcc_lo
	;; [unrolled: 2-line block ×4, first 2 shown]
	v_cmp_eq_u32_e32 vcc_lo, s23, v7
	v_cndmask_b32_e32 v7, v15, v14, vcc_lo
	v_cmp_eq_u32_e32 vcc_lo, s23, v18
	v_add_nc_u64_e32 v[14:15], 2, v[12:13]
	v_cndmask_b32_e32 v11, v19, v11, vcc_lo
	s_delay_alu instid0(VALU_DEP_4) | instskip(NEXT) | instid1(VALU_DEP_2)
	v_cmp_ne_u32_e32 vcc_lo, 0, v7
	v_cmp_ne_u32_e64 s2, 0, v11
	s_delay_alu instid0(VALU_DEP_4) | instskip(NEXT) | instid1(VALU_DEP_1)
	v_dual_cndmask_b32 v7, v17, v15, vcc_lo :: v_dual_cndmask_b32 v11, v16, v14, vcc_lo
	v_dual_cndmask_b32 v7, v13, v7, s2 :: v_dual_bitop2_b32 v10, s20, v10 bitop3:0x14
	s_delay_alu instid0(VALU_DEP_1) | instskip(NEXT) | instid1(VALU_DEP_2)
	v_dual_cndmask_b32 v12, v12, v11, s2 :: v_dual_mov_b32 v11, v10
	v_xor_b32_e32 v13, v7, v10
	s_delay_alu instid0(VALU_DEP_2) | instskip(NEXT) | instid1(VALU_DEP_1)
	v_xor_b32_e32 v12, v12, v10
	v_sub_nc_u64_e32 v[10:11], v[12:13], v[10:11]
.LBB15_5:                               ;   in Loop: Header=BB15_3 Depth=1
	s_and_not1_saveexec_b32 s2, s26
	s_cbranch_execz .LBB15_7
; %bb.6:                                ;   in Loop: Header=BB15_3 Depth=1
	v_cvt_f32_u32_e32 v7, s18
	s_sub_co_i32 s20, 0, s18
	s_delay_alu instid0(VALU_DEP_1) | instskip(SKIP_1) | instid1(TRANS32_DEP_1)
	v_rcp_iflag_f32_e32 v7, v7
	v_nop
	v_mul_f32_e32 v7, 0x4f7ffffe, v7
	s_delay_alu instid0(VALU_DEP_1) | instskip(NEXT) | instid1(VALU_DEP_1)
	v_cvt_u32_f32_e32 v7, v7
	v_mul_lo_u32 v10, s20, v7
	s_delay_alu instid0(VALU_DEP_1) | instskip(NEXT) | instid1(VALU_DEP_1)
	v_mul_hi_u32 v10, v7, v10
	v_add_nc_u32_e32 v7, v7, v10
	s_delay_alu instid0(VALU_DEP_1) | instskip(NEXT) | instid1(VALU_DEP_1)
	v_mul_hi_u32 v7, v8, v7
	v_mul_lo_u32 v10, v7, s18
	s_delay_alu instid0(VALU_DEP_1) | instskip(NEXT) | instid1(VALU_DEP_1)
	v_dual_add_nc_u32 v11, 1, v7 :: v_dual_sub_nc_u32 v10, v8, v10
	v_subrev_nc_u32_e32 v12, s18, v10
	v_cmp_le_u32_e32 vcc_lo, s18, v10
	s_delay_alu instid0(VALU_DEP_2) | instskip(NEXT) | instid1(VALU_DEP_1)
	v_dual_cndmask_b32 v10, v10, v12 :: v_dual_cndmask_b32 v7, v7, v11
	v_cmp_le_u32_e32 vcc_lo, s18, v10
	s_delay_alu instid0(VALU_DEP_2) | instskip(NEXT) | instid1(VALU_DEP_1)
	v_add_nc_u32_e32 v11, 1, v7
	v_dual_cndmask_b32 v10, v7, v11 :: v_dual_mov_b32 v11, v6
.LBB15_7:                               ;   in Loop: Header=BB15_3 Depth=1
	s_or_b32 exec_lo, exec_lo, s2
	s_delay_alu instid0(VALU_DEP_1)
	v_mul_u64_e32 v[12:13], s[18:19], v[10:11]
	s_load_b64 s[18:19], s[16:17], 0xc8
	s_add_co_i32 s25, s25, -1
	s_wait_xcnt 0x0
	s_add_nc_u64 s[16:17], s[16:17], -8
	s_cmp_gt_u32 s25, 2
	s_delay_alu instid0(VALU_DEP_1) | instskip(SKIP_1) | instid1(VALU_DEP_1)
	v_sub_nc_u64_e32 v[8:9], v[8:9], v[12:13]
	s_wait_kmcnt 0x0
	v_mad_nc_u64_u32 v[4:5], s18, v8, v[4:5]
	s_delay_alu instid0(VALU_DEP_1) | instskip(NEXT) | instid1(VALU_DEP_1)
	v_mad_u32 v5, s19, v8, v5
	v_mad_u32 v5, s18, v9, v5
	s_cbranch_scc0 .LBB15_10
; %bb.8:                                ;   in Loop: Header=BB15_3 Depth=1
	v_mov_b64_e32 v[8:9], v[10:11]
	s_branch .LBB15_3
.LBB15_9:
	v_mov_b64_e32 v[10:11], v[0:1]
.LBB15_10:
	v_mul_u64_e32 v[8:9], s[12:13], v[2:3]
	v_mul_u64_e32 v[6:7], s[10:11], v[2:3]
	s_clause 0x2
	s_load_b64 s[10:11], s[0:1], 0x1a8
	s_load_b32 s3, s[8:9], 0xd0
	s_load_b64 s[12:13], s[8:9], 0x0
	s_ashr_i32 s2, s24, 31
	s_wait_xcnt 0x0
	s_load_b64 s[0:1], s[0:1], 0x0
	s_wait_kmcnt 0x0
	v_mad_u32 v5, s3, v10, v4
	s_ashr_i32 s3, s5, 31
	s_delay_alu instid0(VALU_DEP_3) | instskip(SKIP_1) | instid1(VALU_DEP_4)
	v_mul_lo_u32 v3, v9, s4
	v_mov_b32_e32 v4, 0
	v_mul_lo_u32 v7, v7, s7
	s_delay_alu instid0(VALU_DEP_3) | instskip(NEXT) | instid1(VALU_DEP_3)
	v_sub_nc_u32_e32 v3, v2, v3
	v_ashrrev_i64 v[4:5], 29, v[4:5]
	s_delay_alu instid0(VALU_DEP_3) | instskip(NEXT) | instid1(VALU_DEP_3)
	v_sub_nc_u32_e32 v7, v2, v7
	v_subrev_nc_u32_e32 v8, s4, v3
	v_cmp_le_u32_e32 vcc_lo, s4, v3
	v_add_nc_u32_e32 v6, 1, v9
	v_add_nc_u64_e32 v[4:5], s[12:13], v[4:5]
	s_delay_alu instid0(VALU_DEP_2)
	v_dual_cndmask_b32 v3, v3, v8 :: v_dual_cndmask_b32 v6, v9, v6
	v_xor_b32_e32 v9, s2, v1
	s_mov_b32 s2, s5
	global_load_b64 v[4:5], v[4:5], off
	v_cmp_le_u32_e32 vcc_lo, s4, v3
	v_add_nc_u32_e32 v8, 1, v6
	s_delay_alu instid0(VALU_DEP_1)
	v_cndmask_b32_e32 v6, v6, v8, vcc_lo
	v_cmp_le_u32_e32 vcc_lo, s7, v7
	s_wait_loadcnt 0x0
	v_mul_u64_e32 v[2:3], s[2:3], v[4:5]
	v_subrev_nc_u32_e32 v5, s7, v7
	s_mul_i32 s2, s6, s5
	s_delay_alu instid0(VALU_DEP_1) | instskip(NEXT) | instid1(VALU_DEP_1)
	v_cndmask_b32_e32 v5, v7, v5, vcc_lo
	v_cmp_le_u32_e32 vcc_lo, s7, v5
	v_xor_b32_e32 v4, v6, v9
	v_subrev_nc_u32_e32 v6, s7, v5
	s_delay_alu instid0(VALU_DEP_1) | instskip(NEXT) | instid1(VALU_DEP_1)
	v_dual_cndmask_b32 v6, v5, v6, vcc_lo :: v_dual_sub_nc_u32 v4, v4, v9
	v_xor_b32_e32 v6, v6, v1
	s_delay_alu instid0(VALU_DEP_2) | instskip(NEXT) | instid1(VALU_DEP_2)
	v_mul_lo_u32 v4, s2, v4
	v_sub_nc_u32_e32 v6, v6, v1
	v_lshl_add_u64 v[0:1], v[0:1], 3, s[0:1]
	s_mov_b32 s0, 0
	s_delay_alu instid0(VALU_DEP_2) | instskip(NEXT) | instid1(VALU_DEP_1)
	v_dual_ashrrev_i32 v7, 31, v6 :: v_dual_ashrrev_i32 v5, 31, v4
	v_lshl_add_u64 v[4:5], v[4:5], 3, s[10:11]
	s_delay_alu instid0(VALU_DEP_1) | instskip(NEXT) | instid1(VALU_DEP_1)
	v_lshl_add_u64 v[2:3], v[2:3], 3, v[4:5]
	v_lshl_add_u64 v[4:5], v[6:7], 3, v[2:3]
	global_load_b64 v[6:7], v[0:1], off
	global_load_b64 v[2:3], v[4:5], off scope:SCOPE_SYS
.LBB15_11:                              ; =>This Inner Loop Header: Depth=1
	s_wait_loadcnt 0x0
	s_delay_alu instid0(VALU_DEP_1)
	v_mul_f64_e32 v[0:1], v[6:7], v[2:3]
	global_atomic_cmpswap_b64 v[0:1], v[4:5], v[0:3], off th:TH_ATOMIC_RETURN scope:SCOPE_DEV
	s_wait_loadcnt 0x0
	v_cmp_eq_u64_e32 vcc_lo, v[2:3], v[0:1]
	v_mov_b64_e32 v[2:3], v[0:1]
	s_or_b32 s0, vcc_lo, s0
	s_delay_alu instid0(SALU_CYCLE_1)
	s_and_not1_b32 exec_lo, exec_lo, s0
	s_cbranch_execnz .LBB15_11
.LBB15_12:
	s_endpgm
	.section	.rodata,"a",@progbits
	.p2align	6, 0x0
	.amdhsa_kernel _Z14scatter_kernelIdL13ReductionType1EEvPKT_10TensorInfoIllEPS1_iiii
		.amdhsa_group_segment_fixed_size 0
		.amdhsa_private_segment_fixed_size 0
		.amdhsa_kernarg_size 704
		.amdhsa_user_sgpr_count 2
		.amdhsa_user_sgpr_dispatch_ptr 0
		.amdhsa_user_sgpr_queue_ptr 0
		.amdhsa_user_sgpr_kernarg_segment_ptr 1
		.amdhsa_user_sgpr_dispatch_id 0
		.amdhsa_user_sgpr_kernarg_preload_length 0
		.amdhsa_user_sgpr_kernarg_preload_offset 0
		.amdhsa_user_sgpr_private_segment_size 0
		.amdhsa_wavefront_size32 1
		.amdhsa_uses_dynamic_stack 0
		.amdhsa_enable_private_segment 0
		.amdhsa_system_sgpr_workgroup_id_x 1
		.amdhsa_system_sgpr_workgroup_id_y 0
		.amdhsa_system_sgpr_workgroup_id_z 0
		.amdhsa_system_sgpr_workgroup_info 0
		.amdhsa_system_vgpr_workitem_id 0
		.amdhsa_next_free_vgpr 24
		.amdhsa_next_free_sgpr 38
		.amdhsa_named_barrier_count 0
		.amdhsa_reserve_vcc 1
		.amdhsa_float_round_mode_32 0
		.amdhsa_float_round_mode_16_64 0
		.amdhsa_float_denorm_mode_32 3
		.amdhsa_float_denorm_mode_16_64 3
		.amdhsa_fp16_overflow 0
		.amdhsa_memory_ordered 1
		.amdhsa_forward_progress 1
		.amdhsa_inst_pref_size 12
		.amdhsa_round_robin_scheduling 0
		.amdhsa_exception_fp_ieee_invalid_op 0
		.amdhsa_exception_fp_denorm_src 0
		.amdhsa_exception_fp_ieee_div_zero 0
		.amdhsa_exception_fp_ieee_overflow 0
		.amdhsa_exception_fp_ieee_underflow 0
		.amdhsa_exception_fp_ieee_inexact 0
		.amdhsa_exception_int_div_zero 0
	.end_amdhsa_kernel
	.section	.text._Z14scatter_kernelIdL13ReductionType1EEvPKT_10TensorInfoIllEPS1_iiii,"axG",@progbits,_Z14scatter_kernelIdL13ReductionType1EEvPKT_10TensorInfoIllEPS1_iiii,comdat
.Lfunc_end15:
	.size	_Z14scatter_kernelIdL13ReductionType1EEvPKT_10TensorInfoIllEPS1_iiii, .Lfunc_end15-_Z14scatter_kernelIdL13ReductionType1EEvPKT_10TensorInfoIllEPS1_iiii
                                        ; -- End function
	.set _Z14scatter_kernelIdL13ReductionType1EEvPKT_10TensorInfoIllEPS1_iiii.num_vgpr, 24
	.set _Z14scatter_kernelIdL13ReductionType1EEvPKT_10TensorInfoIllEPS1_iiii.num_agpr, 0
	.set _Z14scatter_kernelIdL13ReductionType1EEvPKT_10TensorInfoIllEPS1_iiii.numbered_sgpr, 38
	.set _Z14scatter_kernelIdL13ReductionType1EEvPKT_10TensorInfoIllEPS1_iiii.num_named_barrier, 0
	.set _Z14scatter_kernelIdL13ReductionType1EEvPKT_10TensorInfoIllEPS1_iiii.private_seg_size, 0
	.set _Z14scatter_kernelIdL13ReductionType1EEvPKT_10TensorInfoIllEPS1_iiii.uses_vcc, 1
	.set _Z14scatter_kernelIdL13ReductionType1EEvPKT_10TensorInfoIllEPS1_iiii.uses_flat_scratch, 0
	.set _Z14scatter_kernelIdL13ReductionType1EEvPKT_10TensorInfoIllEPS1_iiii.has_dyn_sized_stack, 0
	.set _Z14scatter_kernelIdL13ReductionType1EEvPKT_10TensorInfoIllEPS1_iiii.has_recursion, 0
	.set _Z14scatter_kernelIdL13ReductionType1EEvPKT_10TensorInfoIllEPS1_iiii.has_indirect_call, 0
	.section	.AMDGPU.csdata,"",@progbits
; Kernel info:
; codeLenInByte = 1524
; TotalNumSgprs: 40
; NumVgprs: 24
; ScratchSize: 0
; MemoryBound: 0
; FloatMode: 240
; IeeeMode: 1
; LDSByteSize: 0 bytes/workgroup (compile time only)
; SGPRBlocks: 0
; VGPRBlocks: 1
; NumSGPRsForWavesPerEU: 40
; NumVGPRsForWavesPerEU: 24
; NamedBarCnt: 0
; Occupancy: 16
; WaveLimiterHint : 1
; COMPUTE_PGM_RSRC2:SCRATCH_EN: 0
; COMPUTE_PGM_RSRC2:USER_SGPR: 2
; COMPUTE_PGM_RSRC2:TRAP_HANDLER: 0
; COMPUTE_PGM_RSRC2:TGID_X_EN: 1
; COMPUTE_PGM_RSRC2:TGID_Y_EN: 0
; COMPUTE_PGM_RSRC2:TGID_Z_EN: 0
; COMPUTE_PGM_RSRC2:TIDIG_COMP_CNT: 0
	.section	.text._Z14scatter_kernelIdL13ReductionType2EEvPKT_10TensorInfoIllEPS1_iiii,"axG",@progbits,_Z14scatter_kernelIdL13ReductionType2EEvPKT_10TensorInfoIllEPS1_iiii,comdat
	.protected	_Z14scatter_kernelIdL13ReductionType2EEvPKT_10TensorInfoIllEPS1_iiii ; -- Begin function _Z14scatter_kernelIdL13ReductionType2EEvPKT_10TensorInfoIllEPS1_iiii
	.globl	_Z14scatter_kernelIdL13ReductionType2EEvPKT_10TensorInfoIllEPS1_iiii
	.p2align	8
	.type	_Z14scatter_kernelIdL13ReductionType2EEvPKT_10TensorInfoIllEPS1_iiii,@function
_Z14scatter_kernelIdL13ReductionType2EEvPKT_10TensorInfoIllEPS1_iiii: ; @_Z14scatter_kernelIdL13ReductionType2EEvPKT_10TensorInfoIllEPS1_iiii
; %bb.0:
	s_clause 0x1
	s_load_b32 s2, s[0:1], 0x1cc
	s_load_b128 s[4:7], s[0:1], 0x1b0
	s_bfe_u32 s3, ttmp6, 0x4000c
	s_and_b32 s8, ttmp6, 15
	s_add_co_i32 s3, s3, 1
	s_getreg_b32 s9, hwreg(HW_REG_IB_STS2, 6, 4)
	s_mul_i32 s3, ttmp9, s3
	s_mov_b32 s11, 0
	s_add_co_i32 s8, s8, s3
	s_wait_kmcnt 0x0
	s_and_b32 s2, s2, 0xffff
	s_cmp_eq_u32 s9, 0
	s_cselect_b32 s3, ttmp9, s8
	s_delay_alu instid0(SALU_CYCLE_1) | instskip(SKIP_1) | instid1(VALU_DEP_1)
	v_mad_u32 v0, s3, s2, v0
	s_mov_b32 s2, exec_lo
	v_cmpx_gt_i32_e64 s7, v0
	s_cbranch_execz .LBB16_12
; %bb.1:
	s_abs_i32 s7, s5
	s_mul_i32 s24, s5, s4
	s_cvt_f32_u32 s2, s7
	s_abs_i32 s4, s24
	s_load_b32 s16, s[0:1], 0x1a0
	s_cvt_f32_u32 s3, s4
	v_rcp_iflag_f32_e32 v1, s2
	s_sub_co_i32 s10, 0, s7
	s_sub_co_i32 s12, 0, s4
	v_rcp_iflag_f32_e32 v2, s3
	v_mov_b64_e32 v[4:5], 0
	s_add_nc_u64 s[8:9], s[0:1], 8
	s_mov_b32 s13, s11
	v_readfirstlane_b32 s2, v1
	v_dual_mov_b32 v6, 0 :: v_dual_sub_nc_u32 v1, 0, v0
	s_delay_alu instid0(TRANS32_DEP_1) | instskip(SKIP_3) | instid1(SALU_CYCLE_1)
	v_readfirstlane_b32 s3, v2
	s_mul_f32 s2, s2, 0x4f7ffffe
	v_dual_mov_b32 v3, v6 :: v_dual_max_i32 v2, v0, v1
	s_mul_f32 s3, s3, 0x4f7ffffe
	s_cvt_u32_f32 s2, s2
	v_ashrrev_i32_e32 v1, 31, v0
	s_delay_alu instid0(SALU_CYCLE_1) | instskip(NEXT) | instid1(SALU_CYCLE_1)
	s_cvt_u32_f32 s3, s3
	s_mul_i32 s10, s10, s2
	s_delay_alu instid0(SALU_CYCLE_1) | instskip(NEXT) | instid1(SALU_CYCLE_1)
	s_mul_hi_u32 s10, s2, s10
	s_mul_i32 s12, s12, s3
	s_add_co_i32 s10, s2, s10
	s_mul_hi_u32 s2, s3, s12
	s_delay_alu instid0(SALU_CYCLE_1)
	s_add_co_i32 s12, s3, s2
	s_wait_kmcnt 0x0
	s_cmp_lt_i32 s16, 2
	s_cbranch_scc1 .LBB16_9
; %bb.2:
	s_add_co_i32 s2, s16, -1
	s_mov_b32 s3, 0
	v_mov_b64_e32 v[4:5], 0
	v_mov_b64_e32 v[8:9], v[0:1]
	s_lshl_b64 s[18:19], s[2:3], 3
	s_mov_b64 s[14:15], 0xffffffff
	s_add_nc_u64 s[18:19], s[8:9], s[18:19]
	s_add_co_i32 s25, s16, 1
	s_add_nc_u64 s[16:17], s[18:19], 8
.LBB16_3:                               ; =>This Inner Loop Header: Depth=1
	s_load_b64 s[18:19], s[16:17], 0x0
                                        ; implicit-def: $vgpr10_vgpr11
	s_mov_b32 s2, exec_lo
	s_wait_kmcnt 0x0
	s_delay_alu instid0(VALU_DEP_1) | instskip(NEXT) | instid1(VALU_DEP_1)
	v_or_b32_e32 v7, s19, v9
	v_cmpx_ne_u64_e32 0, v[6:7]
	s_xor_b32 s26, exec_lo, s2
	s_cbranch_execz .LBB16_5
; %bb.4:                                ;   in Loop: Header=BB16_3 Depth=1
	s_ashr_i32 s20, s19, 31
	v_dual_mov_b32 v15, v6 :: v_dual_ashrrev_i32 v10, 31, v9
	s_mov_b32 s21, s20
	v_mov_b32_e32 v23, v6
	s_add_nc_u64 s[22:23], s[18:19], s[20:21]
	s_delay_alu instid0(VALU_DEP_2) | instskip(SKIP_1) | instid1(SALU_CYCLE_1)
	v_mov_b32_e32 v11, v10
	s_xor_b64 s[22:23], s[22:23], s[20:21]
	s_cvt_f32_u32 s2, s22
	s_cvt_f32_u32 s21, s23
	s_sub_nc_u64 s[30:31], 0, s[22:23]
	v_add_nc_u64_e32 v[12:13], v[8:9], v[10:11]
	v_mov_b32_e32 v19, v6
	s_fmamk_f32 s2, s21, 0x4f800000, s2
	s_delay_alu instid0(SALU_CYCLE_3) | instskip(NEXT) | instid1(VALU_DEP_2)
	v_s_rcp_f32 s2, s2
	v_xor_b32_e32 v14, v12, v10
	s_delay_alu instid0(VALU_DEP_3) | instskip(NEXT) | instid1(TRANS32_DEP_1)
	v_xor_b32_e32 v18, v13, v10
	s_mul_f32 s2, s2, 0x5f7ffffc
	s_delay_alu instid0(SALU_CYCLE_3) | instskip(NEXT) | instid1(SALU_CYCLE_3)
	s_mul_f32 s21, s2, 0x2f800000
	s_trunc_f32 s21, s21
	s_delay_alu instid0(SALU_CYCLE_3) | instskip(SKIP_1) | instid1(SALU_CYCLE_2)
	s_fmamk_f32 s2, s21, 0xcf800000, s2
	s_cvt_u32_f32 s29, s21
	s_cvt_u32_f32 s28, s2
	s_delay_alu instid0(SALU_CYCLE_3) | instskip(NEXT) | instid1(SALU_CYCLE_1)
	s_mul_u64 s[34:35], s[30:31], s[28:29]
	s_mul_hi_u32 s37, s28, s35
	s_mul_i32 s36, s28, s35
	s_mul_hi_u32 s2, s28, s34
	s_mul_i32 s27, s29, s34
	s_add_nc_u64 s[36:37], s[2:3], s[36:37]
	s_mul_hi_u32 s21, s29, s34
	s_mul_hi_u32 s33, s29, s35
	s_add_co_u32 s2, s36, s27
	s_add_co_ci_u32 s2, s37, s21
	s_mul_i32 s34, s29, s35
	s_add_co_ci_u32 s35, s33, 0
	s_delay_alu instid0(SALU_CYCLE_1) | instskip(NEXT) | instid1(SALU_CYCLE_1)
	s_add_nc_u64 s[34:35], s[2:3], s[34:35]
	s_add_co_u32 s28, s28, s34
	s_cselect_b32 s2, -1, 0
	s_delay_alu instid0(SALU_CYCLE_1) | instskip(SKIP_1) | instid1(SALU_CYCLE_1)
	s_cmp_lg_u32 s2, 0
	s_add_co_ci_u32 s29, s29, s35
	s_mul_u64 s[30:31], s[30:31], s[28:29]
	s_delay_alu instid0(SALU_CYCLE_1)
	s_mul_hi_u32 s35, s28, s31
	s_mul_i32 s34, s28, s31
	s_mul_hi_u32 s2, s28, s30
	s_mul_i32 s27, s29, s30
	s_add_nc_u64 s[34:35], s[2:3], s[34:35]
	s_mul_hi_u32 s21, s29, s30
	s_mul_hi_u32 s33, s29, s31
	s_add_co_u32 s2, s34, s27
	s_add_co_ci_u32 s2, s35, s21
	s_mul_i32 s30, s29, s31
	s_add_co_ci_u32 s31, s33, 0
	s_delay_alu instid0(SALU_CYCLE_1) | instskip(NEXT) | instid1(SALU_CYCLE_1)
	s_add_nc_u64 s[30:31], s[2:3], s[30:31]
	s_add_co_u32 s28, s28, s30
	s_cselect_b32 s2, -1, 0
	v_mul_hi_u32 v22, v14, s28
	s_cmp_lg_u32 s2, 0
	s_add_co_ci_u32 s2, s29, s31
	s_and_b64 s[30:31], s[28:29], s[14:15]
	v_mul_u64_e32 v[16:17], s[2:3], v[14:15]
	v_mul_u64_e32 v[12:13], s[30:31], v[18:19]
	;; [unrolled: 1-line block ×3, first 2 shown]
	s_delay_alu instid0(VALU_DEP_3) | instskip(NEXT) | instid1(VALU_DEP_1)
	v_add_nc_u64_e32 v[16:17], v[22:23], v[16:17]
	v_add_co_u32 v7, vcc_lo, v16, v12
	s_delay_alu instid0(VALU_DEP_2) | instskip(NEXT) | instid1(VALU_DEP_4)
	v_add_co_ci_u32_e32 v22, vcc_lo, v17, v13, vcc_lo
	v_add_co_ci_u32_e32 v21, vcc_lo, 0, v21, vcc_lo
	s_delay_alu instid0(VALU_DEP_1) | instskip(NEXT) | instid1(VALU_DEP_1)
	v_add_nc_u64_e32 v[12:13], v[22:23], v[20:21]
	v_mul_u64_e32 v[16:17], s[22:23], v[12:13]
	s_delay_alu instid0(VALU_DEP_1) | instskip(NEXT) | instid1(VALU_DEP_2)
	v_sub_nc_u32_e32 v7, v18, v17
	v_sub_co_u32 v11, vcc_lo, v14, v16
	s_delay_alu instid0(VALU_DEP_1) | instskip(NEXT) | instid1(VALU_DEP_3)
	v_sub_co_ci_u32_e64 v18, null, v18, v17, vcc_lo
	v_subrev_co_ci_u32_e64 v7, null, s23, v7, vcc_lo
	s_delay_alu instid0(VALU_DEP_3) | instskip(SKIP_1) | instid1(VALU_DEP_3)
	v_sub_co_u32 v14, s2, v11, s22
	v_add_nc_u64_e32 v[16:17], 1, v[12:13]
	v_subrev_co_ci_u32_e64 v7, null, 0, v7, s2
	s_delay_alu instid0(VALU_DEP_3) | instskip(SKIP_1) | instid1(VALU_DEP_3)
	v_cmp_le_u32_e32 vcc_lo, s22, v14
	v_cndmask_b32_e64 v14, 0, -1, vcc_lo
	v_cmp_le_u32_e32 vcc_lo, s23, v7
	v_cndmask_b32_e64 v15, 0, -1, vcc_lo
	v_cmp_le_u32_e32 vcc_lo, s22, v11
	v_cndmask_b32_e64 v11, 0, -1, vcc_lo
	v_cmp_le_u32_e32 vcc_lo, s23, v18
	v_cndmask_b32_e64 v19, 0, -1, vcc_lo
	v_cmp_eq_u32_e32 vcc_lo, s23, v7
	v_cndmask_b32_e32 v7, v15, v14, vcc_lo
	v_cmp_eq_u32_e32 vcc_lo, s23, v18
	v_add_nc_u64_e32 v[14:15], 2, v[12:13]
	v_cndmask_b32_e32 v11, v19, v11, vcc_lo
	s_delay_alu instid0(VALU_DEP_4) | instskip(NEXT) | instid1(VALU_DEP_2)
	v_cmp_ne_u32_e32 vcc_lo, 0, v7
	v_cmp_ne_u32_e64 s2, 0, v11
	s_delay_alu instid0(VALU_DEP_4) | instskip(NEXT) | instid1(VALU_DEP_1)
	v_dual_cndmask_b32 v7, v17, v15, vcc_lo :: v_dual_cndmask_b32 v11, v16, v14, vcc_lo
	v_dual_cndmask_b32 v7, v13, v7, s2 :: v_dual_bitop2_b32 v10, s20, v10 bitop3:0x14
	s_delay_alu instid0(VALU_DEP_1) | instskip(NEXT) | instid1(VALU_DEP_2)
	v_dual_cndmask_b32 v12, v12, v11, s2 :: v_dual_mov_b32 v11, v10
	v_xor_b32_e32 v13, v7, v10
	s_delay_alu instid0(VALU_DEP_2) | instskip(NEXT) | instid1(VALU_DEP_1)
	v_xor_b32_e32 v12, v12, v10
	v_sub_nc_u64_e32 v[10:11], v[12:13], v[10:11]
.LBB16_5:                               ;   in Loop: Header=BB16_3 Depth=1
	s_and_not1_saveexec_b32 s2, s26
	s_cbranch_execz .LBB16_7
; %bb.6:                                ;   in Loop: Header=BB16_3 Depth=1
	v_cvt_f32_u32_e32 v7, s18
	s_sub_co_i32 s20, 0, s18
	s_delay_alu instid0(VALU_DEP_1) | instskip(SKIP_1) | instid1(TRANS32_DEP_1)
	v_rcp_iflag_f32_e32 v7, v7
	v_nop
	v_mul_f32_e32 v7, 0x4f7ffffe, v7
	s_delay_alu instid0(VALU_DEP_1) | instskip(NEXT) | instid1(VALU_DEP_1)
	v_cvt_u32_f32_e32 v7, v7
	v_mul_lo_u32 v10, s20, v7
	s_delay_alu instid0(VALU_DEP_1) | instskip(NEXT) | instid1(VALU_DEP_1)
	v_mul_hi_u32 v10, v7, v10
	v_add_nc_u32_e32 v7, v7, v10
	s_delay_alu instid0(VALU_DEP_1) | instskip(NEXT) | instid1(VALU_DEP_1)
	v_mul_hi_u32 v7, v8, v7
	v_mul_lo_u32 v10, v7, s18
	s_delay_alu instid0(VALU_DEP_1) | instskip(NEXT) | instid1(VALU_DEP_1)
	v_dual_add_nc_u32 v11, 1, v7 :: v_dual_sub_nc_u32 v10, v8, v10
	v_subrev_nc_u32_e32 v12, s18, v10
	v_cmp_le_u32_e32 vcc_lo, s18, v10
	s_delay_alu instid0(VALU_DEP_2) | instskip(NEXT) | instid1(VALU_DEP_1)
	v_dual_cndmask_b32 v10, v10, v12 :: v_dual_cndmask_b32 v7, v7, v11
	v_cmp_le_u32_e32 vcc_lo, s18, v10
	s_delay_alu instid0(VALU_DEP_2) | instskip(NEXT) | instid1(VALU_DEP_1)
	v_add_nc_u32_e32 v11, 1, v7
	v_dual_cndmask_b32 v10, v7, v11 :: v_dual_mov_b32 v11, v6
.LBB16_7:                               ;   in Loop: Header=BB16_3 Depth=1
	s_or_b32 exec_lo, exec_lo, s2
	s_delay_alu instid0(VALU_DEP_1)
	v_mul_u64_e32 v[12:13], s[18:19], v[10:11]
	s_load_b64 s[18:19], s[16:17], 0xc8
	s_add_co_i32 s25, s25, -1
	s_wait_xcnt 0x0
	s_add_nc_u64 s[16:17], s[16:17], -8
	s_cmp_gt_u32 s25, 2
	s_delay_alu instid0(VALU_DEP_1) | instskip(SKIP_1) | instid1(VALU_DEP_1)
	v_sub_nc_u64_e32 v[8:9], v[8:9], v[12:13]
	s_wait_kmcnt 0x0
	v_mad_nc_u64_u32 v[4:5], s18, v8, v[4:5]
	s_delay_alu instid0(VALU_DEP_1) | instskip(NEXT) | instid1(VALU_DEP_1)
	v_mad_u32 v5, s19, v8, v5
	v_mad_u32 v5, s18, v9, v5
	s_cbranch_scc0 .LBB16_10
; %bb.8:                                ;   in Loop: Header=BB16_3 Depth=1
	v_mov_b64_e32 v[8:9], v[10:11]
	s_branch .LBB16_3
.LBB16_9:
	v_mov_b64_e32 v[10:11], v[0:1]
.LBB16_10:
	v_mul_u64_e32 v[8:9], s[12:13], v[2:3]
	v_mul_u64_e32 v[6:7], s[10:11], v[2:3]
	s_clause 0x2
	s_load_b64 s[10:11], s[0:1], 0x1a8
	s_load_b32 s3, s[8:9], 0xd0
	s_load_b64 s[12:13], s[8:9], 0x0
	s_ashr_i32 s2, s24, 31
	s_wait_xcnt 0x0
	s_load_b64 s[0:1], s[0:1], 0x0
	s_wait_kmcnt 0x0
	v_mad_u32 v5, s3, v10, v4
	s_ashr_i32 s3, s5, 31
	s_delay_alu instid0(VALU_DEP_3) | instskip(SKIP_1) | instid1(VALU_DEP_4)
	v_mul_lo_u32 v3, v9, s4
	v_mov_b32_e32 v4, 0
	v_mul_lo_u32 v7, v7, s7
	s_delay_alu instid0(VALU_DEP_3) | instskip(NEXT) | instid1(VALU_DEP_3)
	v_sub_nc_u32_e32 v3, v2, v3
	v_ashrrev_i64 v[4:5], 29, v[4:5]
	s_delay_alu instid0(VALU_DEP_3) | instskip(NEXT) | instid1(VALU_DEP_3)
	v_sub_nc_u32_e32 v7, v2, v7
	v_subrev_nc_u32_e32 v8, s4, v3
	v_cmp_le_u32_e32 vcc_lo, s4, v3
	v_add_nc_u32_e32 v6, 1, v9
	v_add_nc_u64_e32 v[4:5], s[12:13], v[4:5]
	s_delay_alu instid0(VALU_DEP_2)
	v_dual_cndmask_b32 v3, v3, v8 :: v_dual_cndmask_b32 v6, v9, v6
	v_xor_b32_e32 v9, s2, v1
	s_mov_b32 s2, s5
	global_load_b64 v[4:5], v[4:5], off
	v_cmp_le_u32_e32 vcc_lo, s4, v3
	v_add_nc_u32_e32 v8, 1, v6
	s_delay_alu instid0(VALU_DEP_1)
	v_cndmask_b32_e32 v6, v6, v8, vcc_lo
	v_cmp_le_u32_e32 vcc_lo, s7, v7
	s_wait_loadcnt 0x0
	v_mul_u64_e32 v[2:3], s[2:3], v[4:5]
	v_subrev_nc_u32_e32 v5, s7, v7
	s_mul_i32 s2, s6, s5
	s_delay_alu instid0(VALU_DEP_1) | instskip(NEXT) | instid1(VALU_DEP_1)
	v_cndmask_b32_e32 v5, v7, v5, vcc_lo
	v_cmp_le_u32_e32 vcc_lo, s7, v5
	v_xor_b32_e32 v4, v6, v9
	v_subrev_nc_u32_e32 v6, s7, v5
	s_delay_alu instid0(VALU_DEP_1) | instskip(NEXT) | instid1(VALU_DEP_1)
	v_dual_cndmask_b32 v6, v5, v6, vcc_lo :: v_dual_sub_nc_u32 v4, v4, v9
	v_xor_b32_e32 v6, v6, v1
	s_delay_alu instid0(VALU_DEP_2) | instskip(NEXT) | instid1(VALU_DEP_2)
	v_mul_lo_u32 v4, s2, v4
	v_sub_nc_u32_e32 v6, v6, v1
	v_lshl_add_u64 v[0:1], v[0:1], 3, s[0:1]
	s_mov_b32 s0, 0
	s_delay_alu instid0(VALU_DEP_2) | instskip(NEXT) | instid1(VALU_DEP_1)
	v_dual_ashrrev_i32 v7, 31, v6 :: v_dual_ashrrev_i32 v5, 31, v4
	v_lshl_add_u64 v[4:5], v[4:5], 3, s[10:11]
	s_delay_alu instid0(VALU_DEP_1) | instskip(NEXT) | instid1(VALU_DEP_1)
	v_lshl_add_u64 v[2:3], v[2:3], 3, v[4:5]
	v_lshl_add_u64 v[4:5], v[6:7], 3, v[2:3]
	global_load_b64 v[6:7], v[0:1], off
	global_load_b64 v[2:3], v[4:5], off scope:SCOPE_SYS
.LBB16_11:                              ; =>This Inner Loop Header: Depth=1
	s_wait_loadcnt 0x0
	s_delay_alu instid0(VALU_DEP_1) | instskip(SKIP_1) | instid1(VALU_DEP_2)
	v_div_scale_f64 v[0:1], null, v[6:7], v[6:7], v[2:3]
	v_div_scale_f64 v[12:13], vcc_lo, v[2:3], v[6:7], v[2:3]
	v_rcp_f64_e32 v[8:9], v[0:1]
	v_nop
	s_delay_alu instid0(TRANS32_DEP_1) | instskip(NEXT) | instid1(VALU_DEP_1)
	v_fma_f64 v[10:11], -v[0:1], v[8:9], 1.0
	v_fmac_f64_e32 v[8:9], v[8:9], v[10:11]
	s_delay_alu instid0(VALU_DEP_1) | instskip(NEXT) | instid1(VALU_DEP_1)
	v_fma_f64 v[10:11], -v[0:1], v[8:9], 1.0
	v_fmac_f64_e32 v[8:9], v[8:9], v[10:11]
	s_delay_alu instid0(VALU_DEP_1) | instskip(NEXT) | instid1(VALU_DEP_1)
	v_mul_f64_e32 v[10:11], v[12:13], v[8:9]
	v_fma_f64 v[0:1], -v[0:1], v[10:11], v[12:13]
	s_delay_alu instid0(VALU_DEP_1) | instskip(NEXT) | instid1(VALU_DEP_1)
	v_div_fmas_f64 v[0:1], v[0:1], v[8:9], v[10:11]
	v_div_fixup_f64 v[0:1], v[0:1], v[6:7], v[2:3]
	global_atomic_cmpswap_b64 v[0:1], v[4:5], v[0:3], off th:TH_ATOMIC_RETURN scope:SCOPE_DEV
	s_wait_loadcnt 0x0
	v_cmp_eq_u64_e32 vcc_lo, v[2:3], v[0:1]
	v_mov_b64_e32 v[2:3], v[0:1]
	s_or_b32 s0, vcc_lo, s0
	s_delay_alu instid0(SALU_CYCLE_1)
	s_and_not1_b32 exec_lo, exec_lo, s0
	s_cbranch_execnz .LBB16_11
.LBB16_12:
	s_endpgm
	.section	.rodata,"a",@progbits
	.p2align	6, 0x0
	.amdhsa_kernel _Z14scatter_kernelIdL13ReductionType2EEvPKT_10TensorInfoIllEPS1_iiii
		.amdhsa_group_segment_fixed_size 0
		.amdhsa_private_segment_fixed_size 0
		.amdhsa_kernarg_size 704
		.amdhsa_user_sgpr_count 2
		.amdhsa_user_sgpr_dispatch_ptr 0
		.amdhsa_user_sgpr_queue_ptr 0
		.amdhsa_user_sgpr_kernarg_segment_ptr 1
		.amdhsa_user_sgpr_dispatch_id 0
		.amdhsa_user_sgpr_kernarg_preload_length 0
		.amdhsa_user_sgpr_kernarg_preload_offset 0
		.amdhsa_user_sgpr_private_segment_size 0
		.amdhsa_wavefront_size32 1
		.amdhsa_uses_dynamic_stack 0
		.amdhsa_enable_private_segment 0
		.amdhsa_system_sgpr_workgroup_id_x 1
		.amdhsa_system_sgpr_workgroup_id_y 0
		.amdhsa_system_sgpr_workgroup_id_z 0
		.amdhsa_system_sgpr_workgroup_info 0
		.amdhsa_system_vgpr_workitem_id 0
		.amdhsa_next_free_vgpr 24
		.amdhsa_next_free_sgpr 38
		.amdhsa_named_barrier_count 0
		.amdhsa_reserve_vcc 1
		.amdhsa_float_round_mode_32 0
		.amdhsa_float_round_mode_16_64 0
		.amdhsa_float_denorm_mode_32 3
		.amdhsa_float_denorm_mode_16_64 3
		.amdhsa_fp16_overflow 0
		.amdhsa_memory_ordered 1
		.amdhsa_forward_progress 1
		.amdhsa_inst_pref_size 13
		.amdhsa_round_robin_scheduling 0
		.amdhsa_exception_fp_ieee_invalid_op 0
		.amdhsa_exception_fp_denorm_src 0
		.amdhsa_exception_fp_ieee_div_zero 0
		.amdhsa_exception_fp_ieee_overflow 0
		.amdhsa_exception_fp_ieee_underflow 0
		.amdhsa_exception_fp_ieee_inexact 0
		.amdhsa_exception_int_div_zero 0
	.end_amdhsa_kernel
	.section	.text._Z14scatter_kernelIdL13ReductionType2EEvPKT_10TensorInfoIllEPS1_iiii,"axG",@progbits,_Z14scatter_kernelIdL13ReductionType2EEvPKT_10TensorInfoIllEPS1_iiii,comdat
.Lfunc_end16:
	.size	_Z14scatter_kernelIdL13ReductionType2EEvPKT_10TensorInfoIllEPS1_iiii, .Lfunc_end16-_Z14scatter_kernelIdL13ReductionType2EEvPKT_10TensorInfoIllEPS1_iiii
                                        ; -- End function
	.set _Z14scatter_kernelIdL13ReductionType2EEvPKT_10TensorInfoIllEPS1_iiii.num_vgpr, 24
	.set _Z14scatter_kernelIdL13ReductionType2EEvPKT_10TensorInfoIllEPS1_iiii.num_agpr, 0
	.set _Z14scatter_kernelIdL13ReductionType2EEvPKT_10TensorInfoIllEPS1_iiii.numbered_sgpr, 38
	.set _Z14scatter_kernelIdL13ReductionType2EEvPKT_10TensorInfoIllEPS1_iiii.num_named_barrier, 0
	.set _Z14scatter_kernelIdL13ReductionType2EEvPKT_10TensorInfoIllEPS1_iiii.private_seg_size, 0
	.set _Z14scatter_kernelIdL13ReductionType2EEvPKT_10TensorInfoIllEPS1_iiii.uses_vcc, 1
	.set _Z14scatter_kernelIdL13ReductionType2EEvPKT_10TensorInfoIllEPS1_iiii.uses_flat_scratch, 0
	.set _Z14scatter_kernelIdL13ReductionType2EEvPKT_10TensorInfoIllEPS1_iiii.has_dyn_sized_stack, 0
	.set _Z14scatter_kernelIdL13ReductionType2EEvPKT_10TensorInfoIllEPS1_iiii.has_recursion, 0
	.set _Z14scatter_kernelIdL13ReductionType2EEvPKT_10TensorInfoIllEPS1_iiii.has_indirect_call, 0
	.section	.AMDGPU.csdata,"",@progbits
; Kernel info:
; codeLenInByte = 1612
; TotalNumSgprs: 40
; NumVgprs: 24
; ScratchSize: 0
; MemoryBound: 0
; FloatMode: 240
; IeeeMode: 1
; LDSByteSize: 0 bytes/workgroup (compile time only)
; SGPRBlocks: 0
; VGPRBlocks: 1
; NumSGPRsForWavesPerEU: 40
; NumVGPRsForWavesPerEU: 24
; NamedBarCnt: 0
; Occupancy: 16
; WaveLimiterHint : 1
; COMPUTE_PGM_RSRC2:SCRATCH_EN: 0
; COMPUTE_PGM_RSRC2:USER_SGPR: 2
; COMPUTE_PGM_RSRC2:TRAP_HANDLER: 0
; COMPUTE_PGM_RSRC2:TGID_X_EN: 1
; COMPUTE_PGM_RSRC2:TGID_Y_EN: 0
; COMPUTE_PGM_RSRC2:TGID_Z_EN: 0
; COMPUTE_PGM_RSRC2:TIDIG_COMP_CNT: 0
	.section	.text._Z14scatter_kernelIdL13ReductionType0EEvPKT_10TensorInfoIllEPS1_iiii,"axG",@progbits,_Z14scatter_kernelIdL13ReductionType0EEvPKT_10TensorInfoIllEPS1_iiii,comdat
	.protected	_Z14scatter_kernelIdL13ReductionType0EEvPKT_10TensorInfoIllEPS1_iiii ; -- Begin function _Z14scatter_kernelIdL13ReductionType0EEvPKT_10TensorInfoIllEPS1_iiii
	.globl	_Z14scatter_kernelIdL13ReductionType0EEvPKT_10TensorInfoIllEPS1_iiii
	.p2align	8
	.type	_Z14scatter_kernelIdL13ReductionType0EEvPKT_10TensorInfoIllEPS1_iiii,@function
_Z14scatter_kernelIdL13ReductionType0EEvPKT_10TensorInfoIllEPS1_iiii: ; @_Z14scatter_kernelIdL13ReductionType0EEvPKT_10TensorInfoIllEPS1_iiii
; %bb.0:
	s_clause 0x1
	s_load_b32 s2, s[0:1], 0x1cc
	s_load_b128 s[4:7], s[0:1], 0x1b0
	s_bfe_u32 s3, ttmp6, 0x4000c
	s_and_b32 s8, ttmp6, 15
	s_add_co_i32 s3, s3, 1
	s_getreg_b32 s9, hwreg(HW_REG_IB_STS2, 6, 4)
	s_mul_i32 s3, ttmp9, s3
	s_mov_b32 s11, 0
	s_add_co_i32 s8, s8, s3
	s_wait_kmcnt 0x0
	s_and_b32 s2, s2, 0xffff
	s_cmp_eq_u32 s9, 0
	s_cselect_b32 s3, ttmp9, s8
	s_delay_alu instid0(SALU_CYCLE_1) | instskip(SKIP_1) | instid1(VALU_DEP_1)
	v_mad_u32 v0, s3, s2, v0
	s_mov_b32 s2, exec_lo
	v_cmpx_gt_i32_e64 s7, v0
	s_cbranch_execz .LBB17_11
; %bb.1:
	s_abs_i32 s7, s5
	s_mul_i32 s24, s5, s4
	s_cvt_f32_u32 s2, s7
	s_abs_i32 s4, s24
	s_load_b32 s16, s[0:1], 0x1a0
	s_cvt_f32_u32 s3, s4
	v_rcp_iflag_f32_e32 v1, s2
	s_sub_co_i32 s10, 0, s7
	s_sub_co_i32 s12, 0, s4
	v_rcp_iflag_f32_e32 v2, s3
	v_mov_b64_e32 v[4:5], 0
	s_add_nc_u64 s[8:9], s[0:1], 8
	s_mov_b32 s13, s11
	v_readfirstlane_b32 s2, v1
	v_dual_mov_b32 v6, 0 :: v_dual_sub_nc_u32 v1, 0, v0
	s_delay_alu instid0(TRANS32_DEP_1) | instskip(SKIP_3) | instid1(SALU_CYCLE_1)
	v_readfirstlane_b32 s3, v2
	s_mul_f32 s2, s2, 0x4f7ffffe
	v_dual_mov_b32 v3, v6 :: v_dual_max_i32 v2, v0, v1
	s_mul_f32 s3, s3, 0x4f7ffffe
	s_cvt_u32_f32 s2, s2
	v_ashrrev_i32_e32 v1, 31, v0
	s_delay_alu instid0(SALU_CYCLE_1) | instskip(NEXT) | instid1(SALU_CYCLE_1)
	s_cvt_u32_f32 s3, s3
	s_mul_i32 s10, s10, s2
	s_delay_alu instid0(SALU_CYCLE_1) | instskip(NEXT) | instid1(SALU_CYCLE_1)
	s_mul_hi_u32 s10, s2, s10
	s_mul_i32 s12, s12, s3
	s_add_co_i32 s10, s2, s10
	s_mul_hi_u32 s2, s3, s12
	s_delay_alu instid0(SALU_CYCLE_1)
	s_add_co_i32 s12, s3, s2
	s_wait_kmcnt 0x0
	s_cmp_lt_i32 s16, 2
	s_cbranch_scc1 .LBB17_9
; %bb.2:
	s_add_co_i32 s2, s16, -1
	s_mov_b32 s3, 0
	v_mov_b64_e32 v[4:5], 0
	v_mov_b64_e32 v[8:9], v[0:1]
	s_lshl_b64 s[18:19], s[2:3], 3
	s_mov_b64 s[14:15], 0xffffffff
	s_add_nc_u64 s[18:19], s[8:9], s[18:19]
	s_add_co_i32 s25, s16, 1
	s_add_nc_u64 s[16:17], s[18:19], 8
.LBB17_3:                               ; =>This Inner Loop Header: Depth=1
	s_load_b64 s[18:19], s[16:17], 0x0
                                        ; implicit-def: $vgpr10_vgpr11
	s_mov_b32 s2, exec_lo
	s_wait_kmcnt 0x0
	s_delay_alu instid0(VALU_DEP_1) | instskip(NEXT) | instid1(VALU_DEP_1)
	v_or_b32_e32 v7, s19, v9
	v_cmpx_ne_u64_e32 0, v[6:7]
	s_xor_b32 s26, exec_lo, s2
	s_cbranch_execz .LBB17_5
; %bb.4:                                ;   in Loop: Header=BB17_3 Depth=1
	s_ashr_i32 s20, s19, 31
	v_dual_mov_b32 v15, v6 :: v_dual_ashrrev_i32 v10, 31, v9
	s_mov_b32 s21, s20
	v_mov_b32_e32 v23, v6
	s_add_nc_u64 s[22:23], s[18:19], s[20:21]
	s_delay_alu instid0(VALU_DEP_2) | instskip(SKIP_1) | instid1(SALU_CYCLE_1)
	v_mov_b32_e32 v11, v10
	s_xor_b64 s[22:23], s[22:23], s[20:21]
	s_cvt_f32_u32 s2, s22
	s_cvt_f32_u32 s21, s23
	s_sub_nc_u64 s[30:31], 0, s[22:23]
	v_add_nc_u64_e32 v[12:13], v[8:9], v[10:11]
	v_mov_b32_e32 v19, v6
	s_fmamk_f32 s2, s21, 0x4f800000, s2
	s_delay_alu instid0(SALU_CYCLE_3) | instskip(NEXT) | instid1(VALU_DEP_2)
	v_s_rcp_f32 s2, s2
	v_xor_b32_e32 v14, v12, v10
	s_delay_alu instid0(VALU_DEP_3) | instskip(NEXT) | instid1(TRANS32_DEP_1)
	v_xor_b32_e32 v18, v13, v10
	s_mul_f32 s2, s2, 0x5f7ffffc
	s_delay_alu instid0(SALU_CYCLE_3) | instskip(NEXT) | instid1(SALU_CYCLE_3)
	s_mul_f32 s21, s2, 0x2f800000
	s_trunc_f32 s21, s21
	s_delay_alu instid0(SALU_CYCLE_3) | instskip(SKIP_1) | instid1(SALU_CYCLE_2)
	s_fmamk_f32 s2, s21, 0xcf800000, s2
	s_cvt_u32_f32 s29, s21
	s_cvt_u32_f32 s28, s2
	s_delay_alu instid0(SALU_CYCLE_3) | instskip(NEXT) | instid1(SALU_CYCLE_1)
	s_mul_u64 s[34:35], s[30:31], s[28:29]
	s_mul_hi_u32 s37, s28, s35
	s_mul_i32 s36, s28, s35
	s_mul_hi_u32 s2, s28, s34
	s_mul_i32 s27, s29, s34
	s_add_nc_u64 s[36:37], s[2:3], s[36:37]
	s_mul_hi_u32 s21, s29, s34
	s_mul_hi_u32 s33, s29, s35
	s_add_co_u32 s2, s36, s27
	s_add_co_ci_u32 s2, s37, s21
	s_mul_i32 s34, s29, s35
	s_add_co_ci_u32 s35, s33, 0
	s_delay_alu instid0(SALU_CYCLE_1) | instskip(NEXT) | instid1(SALU_CYCLE_1)
	s_add_nc_u64 s[34:35], s[2:3], s[34:35]
	s_add_co_u32 s28, s28, s34
	s_cselect_b32 s2, -1, 0
	s_delay_alu instid0(SALU_CYCLE_1) | instskip(SKIP_1) | instid1(SALU_CYCLE_1)
	s_cmp_lg_u32 s2, 0
	s_add_co_ci_u32 s29, s29, s35
	s_mul_u64 s[30:31], s[30:31], s[28:29]
	s_delay_alu instid0(SALU_CYCLE_1)
	s_mul_hi_u32 s35, s28, s31
	s_mul_i32 s34, s28, s31
	s_mul_hi_u32 s2, s28, s30
	s_mul_i32 s27, s29, s30
	s_add_nc_u64 s[34:35], s[2:3], s[34:35]
	s_mul_hi_u32 s21, s29, s30
	s_mul_hi_u32 s33, s29, s31
	s_add_co_u32 s2, s34, s27
	s_add_co_ci_u32 s2, s35, s21
	s_mul_i32 s30, s29, s31
	s_add_co_ci_u32 s31, s33, 0
	s_delay_alu instid0(SALU_CYCLE_1) | instskip(NEXT) | instid1(SALU_CYCLE_1)
	s_add_nc_u64 s[30:31], s[2:3], s[30:31]
	s_add_co_u32 s28, s28, s30
	s_cselect_b32 s2, -1, 0
	v_mul_hi_u32 v22, v14, s28
	s_cmp_lg_u32 s2, 0
	s_add_co_ci_u32 s2, s29, s31
	s_and_b64 s[30:31], s[28:29], s[14:15]
	v_mul_u64_e32 v[16:17], s[2:3], v[14:15]
	v_mul_u64_e32 v[12:13], s[30:31], v[18:19]
	;; [unrolled: 1-line block ×3, first 2 shown]
	s_delay_alu instid0(VALU_DEP_3) | instskip(NEXT) | instid1(VALU_DEP_1)
	v_add_nc_u64_e32 v[16:17], v[22:23], v[16:17]
	v_add_co_u32 v7, vcc_lo, v16, v12
	s_delay_alu instid0(VALU_DEP_2) | instskip(NEXT) | instid1(VALU_DEP_4)
	v_add_co_ci_u32_e32 v22, vcc_lo, v17, v13, vcc_lo
	v_add_co_ci_u32_e32 v21, vcc_lo, 0, v21, vcc_lo
	s_delay_alu instid0(VALU_DEP_1) | instskip(NEXT) | instid1(VALU_DEP_1)
	v_add_nc_u64_e32 v[12:13], v[22:23], v[20:21]
	v_mul_u64_e32 v[16:17], s[22:23], v[12:13]
	s_delay_alu instid0(VALU_DEP_1) | instskip(NEXT) | instid1(VALU_DEP_2)
	v_sub_nc_u32_e32 v7, v18, v17
	v_sub_co_u32 v11, vcc_lo, v14, v16
	s_delay_alu instid0(VALU_DEP_1) | instskip(NEXT) | instid1(VALU_DEP_3)
	v_sub_co_ci_u32_e64 v18, null, v18, v17, vcc_lo
	v_subrev_co_ci_u32_e64 v7, null, s23, v7, vcc_lo
	s_delay_alu instid0(VALU_DEP_3) | instskip(SKIP_1) | instid1(VALU_DEP_3)
	v_sub_co_u32 v14, s2, v11, s22
	v_add_nc_u64_e32 v[16:17], 1, v[12:13]
	v_subrev_co_ci_u32_e64 v7, null, 0, v7, s2
	s_delay_alu instid0(VALU_DEP_3) | instskip(SKIP_1) | instid1(VALU_DEP_3)
	v_cmp_le_u32_e32 vcc_lo, s22, v14
	v_cndmask_b32_e64 v14, 0, -1, vcc_lo
	v_cmp_le_u32_e32 vcc_lo, s23, v7
	v_cndmask_b32_e64 v15, 0, -1, vcc_lo
	;; [unrolled: 2-line block ×4, first 2 shown]
	v_cmp_eq_u32_e32 vcc_lo, s23, v7
	v_cndmask_b32_e32 v7, v15, v14, vcc_lo
	v_cmp_eq_u32_e32 vcc_lo, s23, v18
	v_add_nc_u64_e32 v[14:15], 2, v[12:13]
	v_cndmask_b32_e32 v11, v19, v11, vcc_lo
	s_delay_alu instid0(VALU_DEP_4) | instskip(NEXT) | instid1(VALU_DEP_2)
	v_cmp_ne_u32_e32 vcc_lo, 0, v7
	v_cmp_ne_u32_e64 s2, 0, v11
	s_delay_alu instid0(VALU_DEP_4) | instskip(NEXT) | instid1(VALU_DEP_1)
	v_dual_cndmask_b32 v7, v17, v15, vcc_lo :: v_dual_cndmask_b32 v11, v16, v14, vcc_lo
	v_dual_cndmask_b32 v7, v13, v7, s2 :: v_dual_bitop2_b32 v10, s20, v10 bitop3:0x14
	s_delay_alu instid0(VALU_DEP_1) | instskip(NEXT) | instid1(VALU_DEP_2)
	v_dual_cndmask_b32 v12, v12, v11, s2 :: v_dual_mov_b32 v11, v10
	v_xor_b32_e32 v13, v7, v10
	s_delay_alu instid0(VALU_DEP_2) | instskip(NEXT) | instid1(VALU_DEP_1)
	v_xor_b32_e32 v12, v12, v10
	v_sub_nc_u64_e32 v[10:11], v[12:13], v[10:11]
.LBB17_5:                               ;   in Loop: Header=BB17_3 Depth=1
	s_and_not1_saveexec_b32 s2, s26
	s_cbranch_execz .LBB17_7
; %bb.6:                                ;   in Loop: Header=BB17_3 Depth=1
	v_cvt_f32_u32_e32 v7, s18
	s_sub_co_i32 s20, 0, s18
	s_delay_alu instid0(VALU_DEP_1) | instskip(SKIP_1) | instid1(TRANS32_DEP_1)
	v_rcp_iflag_f32_e32 v7, v7
	v_nop
	v_mul_f32_e32 v7, 0x4f7ffffe, v7
	s_delay_alu instid0(VALU_DEP_1) | instskip(NEXT) | instid1(VALU_DEP_1)
	v_cvt_u32_f32_e32 v7, v7
	v_mul_lo_u32 v10, s20, v7
	s_delay_alu instid0(VALU_DEP_1) | instskip(NEXT) | instid1(VALU_DEP_1)
	v_mul_hi_u32 v10, v7, v10
	v_add_nc_u32_e32 v7, v7, v10
	s_delay_alu instid0(VALU_DEP_1) | instskip(NEXT) | instid1(VALU_DEP_1)
	v_mul_hi_u32 v7, v8, v7
	v_mul_lo_u32 v10, v7, s18
	s_delay_alu instid0(VALU_DEP_1) | instskip(NEXT) | instid1(VALU_DEP_1)
	v_dual_add_nc_u32 v11, 1, v7 :: v_dual_sub_nc_u32 v10, v8, v10
	v_subrev_nc_u32_e32 v12, s18, v10
	v_cmp_le_u32_e32 vcc_lo, s18, v10
	s_delay_alu instid0(VALU_DEP_2) | instskip(NEXT) | instid1(VALU_DEP_1)
	v_dual_cndmask_b32 v10, v10, v12 :: v_dual_cndmask_b32 v7, v7, v11
	v_cmp_le_u32_e32 vcc_lo, s18, v10
	s_delay_alu instid0(VALU_DEP_2) | instskip(NEXT) | instid1(VALU_DEP_1)
	v_add_nc_u32_e32 v11, 1, v7
	v_dual_cndmask_b32 v10, v7, v11 :: v_dual_mov_b32 v11, v6
.LBB17_7:                               ;   in Loop: Header=BB17_3 Depth=1
	s_or_b32 exec_lo, exec_lo, s2
	s_delay_alu instid0(VALU_DEP_1)
	v_mul_u64_e32 v[12:13], s[18:19], v[10:11]
	s_load_b64 s[18:19], s[16:17], 0xc8
	s_add_co_i32 s25, s25, -1
	s_wait_xcnt 0x0
	s_add_nc_u64 s[16:17], s[16:17], -8
	s_cmp_gt_u32 s25, 2
	s_delay_alu instid0(VALU_DEP_1) | instskip(SKIP_1) | instid1(VALU_DEP_1)
	v_sub_nc_u64_e32 v[8:9], v[8:9], v[12:13]
	s_wait_kmcnt 0x0
	v_mad_nc_u64_u32 v[4:5], s18, v8, v[4:5]
	s_delay_alu instid0(VALU_DEP_1) | instskip(NEXT) | instid1(VALU_DEP_1)
	v_mad_u32 v5, s19, v8, v5
	v_mad_u32 v5, s18, v9, v5
	s_cbranch_scc0 .LBB17_10
; %bb.8:                                ;   in Loop: Header=BB17_3 Depth=1
	v_mov_b64_e32 v[8:9], v[10:11]
	s_branch .LBB17_3
.LBB17_9:
	v_mov_b64_e32 v[10:11], v[0:1]
.LBB17_10:
	v_mul_u64_e32 v[6:7], s[12:13], v[2:3]
	v_mul_u64_e32 v[8:9], s[10:11], v[2:3]
	s_clause 0x2
	s_load_b64 s[10:11], s[0:1], 0x1a8
	s_load_b32 s3, s[8:9], 0xd0
	s_load_b64 s[12:13], s[8:9], 0x0
	s_ashr_i32 s2, s24, 31
	s_wait_xcnt 0x0
	s_load_b64 s[0:1], s[0:1], 0x0
	s_wait_kmcnt 0x0
	v_mad_u32 v5, s3, v10, v4
	v_lshl_add_u64 v[10:11], v[0:1], 3, s[0:1]
	s_ashr_i32 s1, s5, 31
	s_mov_b32 s0, s5
	global_load_b64 v[10:11], v[10:11], off
	v_mul_lo_u32 v0, v7, s4
	v_mov_b32_e32 v4, 0
	v_mul_lo_u32 v6, v9, s7
	s_delay_alu instid0(VALU_DEP_3) | instskip(NEXT) | instid1(VALU_DEP_3)
	v_sub_nc_u32_e32 v0, v2, v0
	v_ashrrev_i64 v[4:5], 29, v[4:5]
	s_delay_alu instid0(VALU_DEP_3) | instskip(NEXT) | instid1(VALU_DEP_3)
	v_sub_nc_u32_e32 v6, v2, v6
	v_subrev_nc_u32_e32 v8, s4, v0
	v_cmp_le_u32_e32 vcc_lo, s4, v0
	v_add_nc_u32_e32 v3, 1, v7
	v_add_nc_u64_e32 v[4:5], s[12:13], v[4:5]
	s_delay_alu instid0(VALU_DEP_2) | instskip(SKIP_4) | instid1(VALU_DEP_1)
	v_dual_cndmask_b32 v0, v0, v8 :: v_dual_cndmask_b32 v3, v7, v3
	v_xor_b32_e32 v8, s2, v1
	global_load_b64 v[4:5], v[4:5], off
	v_cmp_le_u32_e32 vcc_lo, s4, v0
	v_add_nc_u32_e32 v7, 1, v3
	v_cndmask_b32_e32 v0, v3, v7, vcc_lo
	v_cmp_le_u32_e32 vcc_lo, s7, v6
	s_wait_loadcnt 0x0
	v_mul_u64_e32 v[2:3], s[0:1], v[4:5]
	v_subrev_nc_u32_e32 v4, s7, v6
	s_mul_i32 s0, s6, s5
	s_delay_alu instid0(VALU_DEP_1) | instskip(SKIP_1) | instid1(VALU_DEP_2)
	v_cndmask_b32_e32 v5, v6, v4, vcc_lo
	v_xor_b32_e32 v0, v0, v8
	v_cmp_le_u32_e32 vcc_lo, s7, v5
	s_delay_alu instid0(VALU_DEP_2) | instskip(NEXT) | instid1(VALU_DEP_1)
	v_sub_nc_u32_e32 v0, v0, v8
	v_mul_lo_u32 v4, s0, v0
	v_subrev_nc_u32_e32 v0, s7, v5
	s_delay_alu instid0(VALU_DEP_1) | instskip(NEXT) | instid1(VALU_DEP_1)
	v_cndmask_b32_e32 v0, v5, v0, vcc_lo
	v_dual_ashrrev_i32 v5, 31, v4 :: v_dual_bitop2_b32 v0, v0, v1 bitop3:0x14
	s_delay_alu instid0(VALU_DEP_1) | instskip(NEXT) | instid1(VALU_DEP_2)
	v_lshl_add_u64 v[4:5], v[4:5], 3, s[10:11]
	v_sub_nc_u32_e32 v0, v0, v1
	s_delay_alu instid0(VALU_DEP_2) | instskip(NEXT) | instid1(VALU_DEP_2)
	v_lshl_add_u64 v[2:3], v[2:3], 3, v[4:5]
	v_ashrrev_i32_e32 v1, 31, v0
	s_delay_alu instid0(VALU_DEP_1)
	v_lshl_add_u64 v[0:1], v[0:1], 3, v[2:3]
	global_atomic_add_f64 v[0:1], v[10:11], off scope:SCOPE_DEV
.LBB17_11:
	s_endpgm
	.section	.rodata,"a",@progbits
	.p2align	6, 0x0
	.amdhsa_kernel _Z14scatter_kernelIdL13ReductionType0EEvPKT_10TensorInfoIllEPS1_iiii
		.amdhsa_group_segment_fixed_size 0
		.amdhsa_private_segment_fixed_size 0
		.amdhsa_kernarg_size 704
		.amdhsa_user_sgpr_count 2
		.amdhsa_user_sgpr_dispatch_ptr 0
		.amdhsa_user_sgpr_queue_ptr 0
		.amdhsa_user_sgpr_kernarg_segment_ptr 1
		.amdhsa_user_sgpr_dispatch_id 0
		.amdhsa_user_sgpr_kernarg_preload_length 0
		.amdhsa_user_sgpr_kernarg_preload_offset 0
		.amdhsa_user_sgpr_private_segment_size 0
		.amdhsa_wavefront_size32 1
		.amdhsa_uses_dynamic_stack 0
		.amdhsa_enable_private_segment 0
		.amdhsa_system_sgpr_workgroup_id_x 1
		.amdhsa_system_sgpr_workgroup_id_y 0
		.amdhsa_system_sgpr_workgroup_id_z 0
		.amdhsa_system_sgpr_workgroup_info 0
		.amdhsa_system_vgpr_workitem_id 0
		.amdhsa_next_free_vgpr 24
		.amdhsa_next_free_sgpr 38
		.amdhsa_named_barrier_count 0
		.amdhsa_reserve_vcc 1
		.amdhsa_float_round_mode_32 0
		.amdhsa_float_round_mode_16_64 0
		.amdhsa_float_denorm_mode_32 3
		.amdhsa_float_denorm_mode_16_64 3
		.amdhsa_fp16_overflow 0
		.amdhsa_memory_ordered 1
		.amdhsa_forward_progress 1
		.amdhsa_inst_pref_size 12
		.amdhsa_round_robin_scheduling 0
		.amdhsa_exception_fp_ieee_invalid_op 0
		.amdhsa_exception_fp_denorm_src 0
		.amdhsa_exception_fp_ieee_div_zero 0
		.amdhsa_exception_fp_ieee_overflow 0
		.amdhsa_exception_fp_ieee_underflow 0
		.amdhsa_exception_fp_ieee_inexact 0
		.amdhsa_exception_int_div_zero 0
	.end_amdhsa_kernel
	.section	.text._Z14scatter_kernelIdL13ReductionType0EEvPKT_10TensorInfoIllEPS1_iiii,"axG",@progbits,_Z14scatter_kernelIdL13ReductionType0EEvPKT_10TensorInfoIllEPS1_iiii,comdat
.Lfunc_end17:
	.size	_Z14scatter_kernelIdL13ReductionType0EEvPKT_10TensorInfoIllEPS1_iiii, .Lfunc_end17-_Z14scatter_kernelIdL13ReductionType0EEvPKT_10TensorInfoIllEPS1_iiii
                                        ; -- End function
	.set _Z14scatter_kernelIdL13ReductionType0EEvPKT_10TensorInfoIllEPS1_iiii.num_vgpr, 24
	.set _Z14scatter_kernelIdL13ReductionType0EEvPKT_10TensorInfoIllEPS1_iiii.num_agpr, 0
	.set _Z14scatter_kernelIdL13ReductionType0EEvPKT_10TensorInfoIllEPS1_iiii.numbered_sgpr, 38
	.set _Z14scatter_kernelIdL13ReductionType0EEvPKT_10TensorInfoIllEPS1_iiii.num_named_barrier, 0
	.set _Z14scatter_kernelIdL13ReductionType0EEvPKT_10TensorInfoIllEPS1_iiii.private_seg_size, 0
	.set _Z14scatter_kernelIdL13ReductionType0EEvPKT_10TensorInfoIllEPS1_iiii.uses_vcc, 1
	.set _Z14scatter_kernelIdL13ReductionType0EEvPKT_10TensorInfoIllEPS1_iiii.uses_flat_scratch, 0
	.set _Z14scatter_kernelIdL13ReductionType0EEvPKT_10TensorInfoIllEPS1_iiii.has_dyn_sized_stack, 0
	.set _Z14scatter_kernelIdL13ReductionType0EEvPKT_10TensorInfoIllEPS1_iiii.has_recursion, 0
	.set _Z14scatter_kernelIdL13ReductionType0EEvPKT_10TensorInfoIllEPS1_iiii.has_indirect_call, 0
	.section	.AMDGPU.csdata,"",@progbits
; Kernel info:
; codeLenInByte = 1460
; TotalNumSgprs: 40
; NumVgprs: 24
; ScratchSize: 0
; MemoryBound: 0
; FloatMode: 240
; IeeeMode: 1
; LDSByteSize: 0 bytes/workgroup (compile time only)
; SGPRBlocks: 0
; VGPRBlocks: 1
; NumSGPRsForWavesPerEU: 40
; NumVGPRsForWavesPerEU: 24
; NamedBarCnt: 0
; Occupancy: 16
; WaveLimiterHint : 1
; COMPUTE_PGM_RSRC2:SCRATCH_EN: 0
; COMPUTE_PGM_RSRC2:USER_SGPR: 2
; COMPUTE_PGM_RSRC2:TRAP_HANDLER: 0
; COMPUTE_PGM_RSRC2:TGID_X_EN: 1
; COMPUTE_PGM_RSRC2:TGID_Y_EN: 0
; COMPUTE_PGM_RSRC2:TGID_Z_EN: 0
; COMPUTE_PGM_RSRC2:TIDIG_COMP_CNT: 0
	.section	.text._Z14scatter_kernelIdL13ReductionType3EEvPKT_10TensorInfoIllEPS1_iiii,"axG",@progbits,_Z14scatter_kernelIdL13ReductionType3EEvPKT_10TensorInfoIllEPS1_iiii,comdat
	.protected	_Z14scatter_kernelIdL13ReductionType3EEvPKT_10TensorInfoIllEPS1_iiii ; -- Begin function _Z14scatter_kernelIdL13ReductionType3EEvPKT_10TensorInfoIllEPS1_iiii
	.globl	_Z14scatter_kernelIdL13ReductionType3EEvPKT_10TensorInfoIllEPS1_iiii
	.p2align	8
	.type	_Z14scatter_kernelIdL13ReductionType3EEvPKT_10TensorInfoIllEPS1_iiii,@function
_Z14scatter_kernelIdL13ReductionType3EEvPKT_10TensorInfoIllEPS1_iiii: ; @_Z14scatter_kernelIdL13ReductionType3EEvPKT_10TensorInfoIllEPS1_iiii
; %bb.0:
	s_clause 0x1
	s_load_b32 s2, s[0:1], 0x1cc
	s_load_b128 s[4:7], s[0:1], 0x1b0
	s_bfe_u32 s3, ttmp6, 0x4000c
	s_and_b32 s8, ttmp6, 15
	s_add_co_i32 s3, s3, 1
	s_getreg_b32 s9, hwreg(HW_REG_IB_STS2, 6, 4)
	s_mul_i32 s3, ttmp9, s3
	s_mov_b32 s11, 0
	s_add_co_i32 s8, s8, s3
	s_wait_kmcnt 0x0
	s_and_b32 s2, s2, 0xffff
	s_cmp_eq_u32 s9, 0
	s_cselect_b32 s3, ttmp9, s8
	s_delay_alu instid0(SALU_CYCLE_1) | instskip(SKIP_1) | instid1(VALU_DEP_1)
	v_mad_u32 v0, s3, s2, v0
	s_mov_b32 s2, exec_lo
	v_cmpx_gt_i32_e64 s7, v0
	s_cbranch_execz .LBB18_12
; %bb.1:
	s_abs_i32 s7, s5
	s_mul_i32 s24, s5, s4
	s_cvt_f32_u32 s2, s7
	s_abs_i32 s4, s24
	s_load_b32 s16, s[0:1], 0x1a0
	s_cvt_f32_u32 s3, s4
	v_rcp_iflag_f32_e32 v1, s2
	s_sub_co_i32 s10, 0, s7
	s_sub_co_i32 s12, 0, s4
	v_rcp_iflag_f32_e32 v2, s3
	v_mov_b64_e32 v[4:5], 0
	s_add_nc_u64 s[8:9], s[0:1], 8
	s_mov_b32 s13, s11
	v_readfirstlane_b32 s2, v1
	v_dual_mov_b32 v6, 0 :: v_dual_sub_nc_u32 v1, 0, v0
	s_delay_alu instid0(TRANS32_DEP_1) | instskip(SKIP_3) | instid1(SALU_CYCLE_1)
	v_readfirstlane_b32 s3, v2
	s_mul_f32 s2, s2, 0x4f7ffffe
	v_dual_mov_b32 v3, v6 :: v_dual_max_i32 v2, v0, v1
	s_mul_f32 s3, s3, 0x4f7ffffe
	s_cvt_u32_f32 s2, s2
	v_ashrrev_i32_e32 v1, 31, v0
	s_delay_alu instid0(SALU_CYCLE_1) | instskip(NEXT) | instid1(SALU_CYCLE_1)
	s_cvt_u32_f32 s3, s3
	s_mul_i32 s10, s10, s2
	s_delay_alu instid0(SALU_CYCLE_1) | instskip(NEXT) | instid1(SALU_CYCLE_1)
	s_mul_hi_u32 s10, s2, s10
	s_mul_i32 s12, s12, s3
	s_add_co_i32 s10, s2, s10
	s_mul_hi_u32 s2, s3, s12
	s_delay_alu instid0(SALU_CYCLE_1)
	s_add_co_i32 s12, s3, s2
	s_wait_kmcnt 0x0
	s_cmp_lt_i32 s16, 2
	s_cbranch_scc1 .LBB18_9
; %bb.2:
	s_add_co_i32 s2, s16, -1
	s_mov_b32 s3, 0
	v_mov_b64_e32 v[4:5], 0
	v_mov_b64_e32 v[8:9], v[0:1]
	s_lshl_b64 s[18:19], s[2:3], 3
	s_mov_b64 s[14:15], 0xffffffff
	s_add_nc_u64 s[18:19], s[8:9], s[18:19]
	s_add_co_i32 s25, s16, 1
	s_add_nc_u64 s[16:17], s[18:19], 8
.LBB18_3:                               ; =>This Inner Loop Header: Depth=1
	s_load_b64 s[18:19], s[16:17], 0x0
                                        ; implicit-def: $vgpr10_vgpr11
	s_mov_b32 s2, exec_lo
	s_wait_kmcnt 0x0
	s_delay_alu instid0(VALU_DEP_1) | instskip(NEXT) | instid1(VALU_DEP_1)
	v_or_b32_e32 v7, s19, v9
	v_cmpx_ne_u64_e32 0, v[6:7]
	s_xor_b32 s26, exec_lo, s2
	s_cbranch_execz .LBB18_5
; %bb.4:                                ;   in Loop: Header=BB18_3 Depth=1
	s_ashr_i32 s20, s19, 31
	v_dual_mov_b32 v15, v6 :: v_dual_ashrrev_i32 v10, 31, v9
	s_mov_b32 s21, s20
	v_mov_b32_e32 v23, v6
	s_add_nc_u64 s[22:23], s[18:19], s[20:21]
	s_delay_alu instid0(VALU_DEP_2) | instskip(SKIP_1) | instid1(SALU_CYCLE_1)
	v_mov_b32_e32 v11, v10
	s_xor_b64 s[22:23], s[22:23], s[20:21]
	s_cvt_f32_u32 s2, s22
	s_cvt_f32_u32 s21, s23
	s_sub_nc_u64 s[30:31], 0, s[22:23]
	v_add_nc_u64_e32 v[12:13], v[8:9], v[10:11]
	v_mov_b32_e32 v19, v6
	s_fmamk_f32 s2, s21, 0x4f800000, s2
	s_delay_alu instid0(SALU_CYCLE_3) | instskip(NEXT) | instid1(VALU_DEP_2)
	v_s_rcp_f32 s2, s2
	v_xor_b32_e32 v14, v12, v10
	s_delay_alu instid0(VALU_DEP_3) | instskip(NEXT) | instid1(TRANS32_DEP_1)
	v_xor_b32_e32 v18, v13, v10
	s_mul_f32 s2, s2, 0x5f7ffffc
	s_delay_alu instid0(SALU_CYCLE_3) | instskip(NEXT) | instid1(SALU_CYCLE_3)
	s_mul_f32 s21, s2, 0x2f800000
	s_trunc_f32 s21, s21
	s_delay_alu instid0(SALU_CYCLE_3) | instskip(SKIP_1) | instid1(SALU_CYCLE_2)
	s_fmamk_f32 s2, s21, 0xcf800000, s2
	s_cvt_u32_f32 s29, s21
	s_cvt_u32_f32 s28, s2
	s_delay_alu instid0(SALU_CYCLE_3) | instskip(NEXT) | instid1(SALU_CYCLE_1)
	s_mul_u64 s[34:35], s[30:31], s[28:29]
	s_mul_hi_u32 s37, s28, s35
	s_mul_i32 s36, s28, s35
	s_mul_hi_u32 s2, s28, s34
	s_mul_i32 s27, s29, s34
	s_add_nc_u64 s[36:37], s[2:3], s[36:37]
	s_mul_hi_u32 s21, s29, s34
	s_mul_hi_u32 s33, s29, s35
	s_add_co_u32 s2, s36, s27
	s_add_co_ci_u32 s2, s37, s21
	s_mul_i32 s34, s29, s35
	s_add_co_ci_u32 s35, s33, 0
	s_delay_alu instid0(SALU_CYCLE_1) | instskip(NEXT) | instid1(SALU_CYCLE_1)
	s_add_nc_u64 s[34:35], s[2:3], s[34:35]
	s_add_co_u32 s28, s28, s34
	s_cselect_b32 s2, -1, 0
	s_delay_alu instid0(SALU_CYCLE_1) | instskip(SKIP_1) | instid1(SALU_CYCLE_1)
	s_cmp_lg_u32 s2, 0
	s_add_co_ci_u32 s29, s29, s35
	s_mul_u64 s[30:31], s[30:31], s[28:29]
	s_delay_alu instid0(SALU_CYCLE_1)
	s_mul_hi_u32 s35, s28, s31
	s_mul_i32 s34, s28, s31
	s_mul_hi_u32 s2, s28, s30
	s_mul_i32 s27, s29, s30
	s_add_nc_u64 s[34:35], s[2:3], s[34:35]
	s_mul_hi_u32 s21, s29, s30
	s_mul_hi_u32 s33, s29, s31
	s_add_co_u32 s2, s34, s27
	s_add_co_ci_u32 s2, s35, s21
	s_mul_i32 s30, s29, s31
	s_add_co_ci_u32 s31, s33, 0
	s_delay_alu instid0(SALU_CYCLE_1) | instskip(NEXT) | instid1(SALU_CYCLE_1)
	s_add_nc_u64 s[30:31], s[2:3], s[30:31]
	s_add_co_u32 s28, s28, s30
	s_cselect_b32 s2, -1, 0
	v_mul_hi_u32 v22, v14, s28
	s_cmp_lg_u32 s2, 0
	s_add_co_ci_u32 s2, s29, s31
	s_and_b64 s[30:31], s[28:29], s[14:15]
	v_mul_u64_e32 v[16:17], s[2:3], v[14:15]
	v_mul_u64_e32 v[12:13], s[30:31], v[18:19]
	;; [unrolled: 1-line block ×3, first 2 shown]
	s_delay_alu instid0(VALU_DEP_3) | instskip(NEXT) | instid1(VALU_DEP_1)
	v_add_nc_u64_e32 v[16:17], v[22:23], v[16:17]
	v_add_co_u32 v7, vcc_lo, v16, v12
	s_delay_alu instid0(VALU_DEP_2) | instskip(NEXT) | instid1(VALU_DEP_4)
	v_add_co_ci_u32_e32 v22, vcc_lo, v17, v13, vcc_lo
	v_add_co_ci_u32_e32 v21, vcc_lo, 0, v21, vcc_lo
	s_delay_alu instid0(VALU_DEP_1) | instskip(NEXT) | instid1(VALU_DEP_1)
	v_add_nc_u64_e32 v[12:13], v[22:23], v[20:21]
	v_mul_u64_e32 v[16:17], s[22:23], v[12:13]
	s_delay_alu instid0(VALU_DEP_1) | instskip(NEXT) | instid1(VALU_DEP_2)
	v_sub_nc_u32_e32 v7, v18, v17
	v_sub_co_u32 v11, vcc_lo, v14, v16
	s_delay_alu instid0(VALU_DEP_1) | instskip(NEXT) | instid1(VALU_DEP_3)
	v_sub_co_ci_u32_e64 v18, null, v18, v17, vcc_lo
	v_subrev_co_ci_u32_e64 v7, null, s23, v7, vcc_lo
	s_delay_alu instid0(VALU_DEP_3) | instskip(SKIP_1) | instid1(VALU_DEP_3)
	v_sub_co_u32 v14, s2, v11, s22
	v_add_nc_u64_e32 v[16:17], 1, v[12:13]
	v_subrev_co_ci_u32_e64 v7, null, 0, v7, s2
	s_delay_alu instid0(VALU_DEP_3) | instskip(SKIP_1) | instid1(VALU_DEP_3)
	v_cmp_le_u32_e32 vcc_lo, s22, v14
	v_cndmask_b32_e64 v14, 0, -1, vcc_lo
	v_cmp_le_u32_e32 vcc_lo, s23, v7
	v_cndmask_b32_e64 v15, 0, -1, vcc_lo
	;; [unrolled: 2-line block ×4, first 2 shown]
	v_cmp_eq_u32_e32 vcc_lo, s23, v7
	v_cndmask_b32_e32 v7, v15, v14, vcc_lo
	v_cmp_eq_u32_e32 vcc_lo, s23, v18
	v_add_nc_u64_e32 v[14:15], 2, v[12:13]
	v_cndmask_b32_e32 v11, v19, v11, vcc_lo
	s_delay_alu instid0(VALU_DEP_4) | instskip(NEXT) | instid1(VALU_DEP_2)
	v_cmp_ne_u32_e32 vcc_lo, 0, v7
	v_cmp_ne_u32_e64 s2, 0, v11
	s_delay_alu instid0(VALU_DEP_4) | instskip(NEXT) | instid1(VALU_DEP_1)
	v_dual_cndmask_b32 v7, v17, v15, vcc_lo :: v_dual_cndmask_b32 v11, v16, v14, vcc_lo
	v_dual_cndmask_b32 v7, v13, v7, s2 :: v_dual_bitop2_b32 v10, s20, v10 bitop3:0x14
	s_delay_alu instid0(VALU_DEP_1) | instskip(NEXT) | instid1(VALU_DEP_2)
	v_dual_cndmask_b32 v12, v12, v11, s2 :: v_dual_mov_b32 v11, v10
	v_xor_b32_e32 v13, v7, v10
	s_delay_alu instid0(VALU_DEP_2) | instskip(NEXT) | instid1(VALU_DEP_1)
	v_xor_b32_e32 v12, v12, v10
	v_sub_nc_u64_e32 v[10:11], v[12:13], v[10:11]
.LBB18_5:                               ;   in Loop: Header=BB18_3 Depth=1
	s_and_not1_saveexec_b32 s2, s26
	s_cbranch_execz .LBB18_7
; %bb.6:                                ;   in Loop: Header=BB18_3 Depth=1
	v_cvt_f32_u32_e32 v7, s18
	s_sub_co_i32 s20, 0, s18
	s_delay_alu instid0(VALU_DEP_1) | instskip(SKIP_1) | instid1(TRANS32_DEP_1)
	v_rcp_iflag_f32_e32 v7, v7
	v_nop
	v_mul_f32_e32 v7, 0x4f7ffffe, v7
	s_delay_alu instid0(VALU_DEP_1) | instskip(NEXT) | instid1(VALU_DEP_1)
	v_cvt_u32_f32_e32 v7, v7
	v_mul_lo_u32 v10, s20, v7
	s_delay_alu instid0(VALU_DEP_1) | instskip(NEXT) | instid1(VALU_DEP_1)
	v_mul_hi_u32 v10, v7, v10
	v_add_nc_u32_e32 v7, v7, v10
	s_delay_alu instid0(VALU_DEP_1) | instskip(NEXT) | instid1(VALU_DEP_1)
	v_mul_hi_u32 v7, v8, v7
	v_mul_lo_u32 v10, v7, s18
	s_delay_alu instid0(VALU_DEP_1) | instskip(NEXT) | instid1(VALU_DEP_1)
	v_dual_add_nc_u32 v11, 1, v7 :: v_dual_sub_nc_u32 v10, v8, v10
	v_subrev_nc_u32_e32 v12, s18, v10
	v_cmp_le_u32_e32 vcc_lo, s18, v10
	s_delay_alu instid0(VALU_DEP_2) | instskip(NEXT) | instid1(VALU_DEP_1)
	v_dual_cndmask_b32 v10, v10, v12 :: v_dual_cndmask_b32 v7, v7, v11
	v_cmp_le_u32_e32 vcc_lo, s18, v10
	s_delay_alu instid0(VALU_DEP_2) | instskip(NEXT) | instid1(VALU_DEP_1)
	v_add_nc_u32_e32 v11, 1, v7
	v_dual_cndmask_b32 v10, v7, v11 :: v_dual_mov_b32 v11, v6
.LBB18_7:                               ;   in Loop: Header=BB18_3 Depth=1
	s_or_b32 exec_lo, exec_lo, s2
	s_delay_alu instid0(VALU_DEP_1)
	v_mul_u64_e32 v[12:13], s[18:19], v[10:11]
	s_load_b64 s[18:19], s[16:17], 0xc8
	s_add_co_i32 s25, s25, -1
	s_wait_xcnt 0x0
	s_add_nc_u64 s[16:17], s[16:17], -8
	s_cmp_gt_u32 s25, 2
	s_delay_alu instid0(VALU_DEP_1) | instskip(SKIP_1) | instid1(VALU_DEP_1)
	v_sub_nc_u64_e32 v[8:9], v[8:9], v[12:13]
	s_wait_kmcnt 0x0
	v_mad_nc_u64_u32 v[4:5], s18, v8, v[4:5]
	s_delay_alu instid0(VALU_DEP_1) | instskip(NEXT) | instid1(VALU_DEP_1)
	v_mad_u32 v5, s19, v8, v5
	v_mad_u32 v5, s18, v9, v5
	s_cbranch_scc0 .LBB18_10
; %bb.8:                                ;   in Loop: Header=BB18_3 Depth=1
	v_mov_b64_e32 v[8:9], v[10:11]
	s_branch .LBB18_3
.LBB18_9:
	v_mov_b64_e32 v[10:11], v[0:1]
.LBB18_10:
	v_mul_u64_e32 v[6:7], s[12:13], v[2:3]
	v_mul_u64_e32 v[8:9], s[10:11], v[2:3]
	s_clause 0x2
	s_load_b64 s[10:11], s[0:1], 0x1a8
	s_load_b32 s3, s[8:9], 0xd0
	s_load_b64 s[12:13], s[8:9], 0x0
	s_ashr_i32 s2, s24, 31
	s_wait_xcnt 0x0
	s_load_b64 s[0:1], s[0:1], 0x0
	s_wait_kmcnt 0x0
	v_mad_u32 v5, s3, v10, v4
	s_ashr_i32 s3, s5, 31
	s_delay_alu instid0(VALU_DEP_3) | instskip(SKIP_1) | instid1(VALU_DEP_4)
	v_mul_lo_u32 v3, v7, s4
	v_mov_b32_e32 v4, 0
	v_mul_lo_u32 v8, v9, s7
	s_delay_alu instid0(VALU_DEP_3) | instskip(NEXT) | instid1(VALU_DEP_3)
	v_sub_nc_u32_e32 v3, v2, v3
	v_ashrrev_i64 v[4:5], 29, v[4:5]
	s_delay_alu instid0(VALU_DEP_2) | instskip(SKIP_2) | instid1(VALU_DEP_4)
	v_subrev_nc_u32_e32 v9, s4, v3
	v_cmp_le_u32_e32 vcc_lo, s4, v3
	v_add_nc_u32_e32 v6, 1, v7
	v_add_nc_u64_e32 v[4:5], s[12:13], v[4:5]
	s_delay_alu instid0(VALU_DEP_4) | instskip(NEXT) | instid1(VALU_DEP_3)
	v_cndmask_b32_e32 v3, v3, v9, vcc_lo
	v_dual_cndmask_b32 v6, v7, v6, vcc_lo :: v_dual_bitop2_b32 v9, s2, v1 bitop3:0x14
	s_mov_b32 s2, s5
	global_load_b64 v[4:5], v[4:5], off
	v_cmp_le_u32_e32 vcc_lo, s4, v3
	v_add_nc_u32_e32 v7, 1, v6
	s_delay_alu instid0(VALU_DEP_1) | instskip(SKIP_1) | instid1(VALU_DEP_1)
	v_cndmask_b32_e32 v6, v6, v7, vcc_lo
	v_sub_nc_u32_e32 v7, v2, v8
	v_subrev_nc_u32_e32 v8, s7, v7
	v_cmp_le_u32_e32 vcc_lo, s7, v7
	s_delay_alu instid0(VALU_DEP_2) | instskip(NEXT) | instid1(VALU_DEP_1)
	v_dual_cndmask_b32 v8, v7, v8, vcc_lo :: v_dual_bitop2_b32 v6, v6, v9 bitop3:0x14
	v_cmp_le_u32_e32 vcc_lo, s7, v8
	s_wait_loadcnt 0x0
	v_mul_u64_e32 v[2:3], s[2:3], v[4:5]
	v_lshl_add_u64 v[4:5], v[0:1], 3, s[0:1]
	v_sub_nc_u32_e32 v0, v6, v9
	s_mul_i32 s0, s6, s5
	global_load_b64 v[6:7], v[4:5], off
	s_wait_xcnt 0x0
	v_mul_lo_u32 v4, s0, v0
	v_subrev_nc_u32_e32 v0, s7, v8
	s_mov_b32 s0, 0
	s_delay_alu instid0(VALU_DEP_1) | instskip(NEXT) | instid1(VALU_DEP_3)
	v_cndmask_b32_e32 v0, v8, v0, vcc_lo
	v_ashrrev_i32_e32 v5, 31, v4
	s_delay_alu instid0(VALU_DEP_1) | instskip(NEXT) | instid1(VALU_DEP_1)
	v_lshl_add_u64 v[4:5], v[4:5], 3, s[10:11]
	v_lshl_add_u64 v[2:3], v[2:3], 3, v[4:5]
	s_wait_loadcnt 0x0
	v_dual_max_num_f64 v[6:7], v[6:7], v[6:7] :: v_dual_bitop2_b32 v0, v0, v1 bitop3:0x14
	s_delay_alu instid0(VALU_DEP_1) | instskip(NEXT) | instid1(VALU_DEP_1)
	v_sub_nc_u32_e32 v0, v0, v1
	v_ashrrev_i32_e32 v1, 31, v0
	s_delay_alu instid0(VALU_DEP_1)
	v_lshl_add_u64 v[4:5], v[0:1], 3, v[2:3]
	global_load_b64 v[2:3], v[4:5], off scope:SCOPE_SYS
.LBB18_11:                              ; =>This Inner Loop Header: Depth=1
	s_wait_loadcnt 0x0
	s_delay_alu instid0(VALU_DEP_1) | instskip(NEXT) | instid1(VALU_DEP_1)
	v_max_num_f64_e32 v[0:1], v[2:3], v[2:3]
	v_min_num_f64_e32 v[0:1], v[0:1], v[6:7]
	global_atomic_cmpswap_b64 v[0:1], v[4:5], v[0:3], off th:TH_ATOMIC_RETURN scope:SCOPE_DEV
	s_wait_loadcnt 0x0
	v_cmp_eq_u64_e32 vcc_lo, v[2:3], v[0:1]
	v_mov_b64_e32 v[2:3], v[0:1]
	s_or_b32 s0, vcc_lo, s0
	s_delay_alu instid0(SALU_CYCLE_1)
	s_and_not1_b32 exec_lo, exec_lo, s0
	s_cbranch_execnz .LBB18_11
.LBB18_12:
	s_endpgm
	.section	.rodata,"a",@progbits
	.p2align	6, 0x0
	.amdhsa_kernel _Z14scatter_kernelIdL13ReductionType3EEvPKT_10TensorInfoIllEPS1_iiii
		.amdhsa_group_segment_fixed_size 0
		.amdhsa_private_segment_fixed_size 0
		.amdhsa_kernarg_size 704
		.amdhsa_user_sgpr_count 2
		.amdhsa_user_sgpr_dispatch_ptr 0
		.amdhsa_user_sgpr_queue_ptr 0
		.amdhsa_user_sgpr_kernarg_segment_ptr 1
		.amdhsa_user_sgpr_dispatch_id 0
		.amdhsa_user_sgpr_kernarg_preload_length 0
		.amdhsa_user_sgpr_kernarg_preload_offset 0
		.amdhsa_user_sgpr_private_segment_size 0
		.amdhsa_wavefront_size32 1
		.amdhsa_uses_dynamic_stack 0
		.amdhsa_enable_private_segment 0
		.amdhsa_system_sgpr_workgroup_id_x 1
		.amdhsa_system_sgpr_workgroup_id_y 0
		.amdhsa_system_sgpr_workgroup_id_z 0
		.amdhsa_system_sgpr_workgroup_info 0
		.amdhsa_system_vgpr_workitem_id 0
		.amdhsa_next_free_vgpr 24
		.amdhsa_next_free_sgpr 38
		.amdhsa_named_barrier_count 0
		.amdhsa_reserve_vcc 1
		.amdhsa_float_round_mode_32 0
		.amdhsa_float_round_mode_16_64 0
		.amdhsa_float_denorm_mode_32 3
		.amdhsa_float_denorm_mode_16_64 3
		.amdhsa_fp16_overflow 0
		.amdhsa_memory_ordered 1
		.amdhsa_forward_progress 1
		.amdhsa_inst_pref_size 13
		.amdhsa_round_robin_scheduling 0
		.amdhsa_exception_fp_ieee_invalid_op 0
		.amdhsa_exception_fp_denorm_src 0
		.amdhsa_exception_fp_ieee_div_zero 0
		.amdhsa_exception_fp_ieee_overflow 0
		.amdhsa_exception_fp_ieee_underflow 0
		.amdhsa_exception_fp_ieee_inexact 0
		.amdhsa_exception_int_div_zero 0
	.end_amdhsa_kernel
	.section	.text._Z14scatter_kernelIdL13ReductionType3EEvPKT_10TensorInfoIllEPS1_iiii,"axG",@progbits,_Z14scatter_kernelIdL13ReductionType3EEvPKT_10TensorInfoIllEPS1_iiii,comdat
.Lfunc_end18:
	.size	_Z14scatter_kernelIdL13ReductionType3EEvPKT_10TensorInfoIllEPS1_iiii, .Lfunc_end18-_Z14scatter_kernelIdL13ReductionType3EEvPKT_10TensorInfoIllEPS1_iiii
                                        ; -- End function
	.set _Z14scatter_kernelIdL13ReductionType3EEvPKT_10TensorInfoIllEPS1_iiii.num_vgpr, 24
	.set _Z14scatter_kernelIdL13ReductionType3EEvPKT_10TensorInfoIllEPS1_iiii.num_agpr, 0
	.set _Z14scatter_kernelIdL13ReductionType3EEvPKT_10TensorInfoIllEPS1_iiii.numbered_sgpr, 38
	.set _Z14scatter_kernelIdL13ReductionType3EEvPKT_10TensorInfoIllEPS1_iiii.num_named_barrier, 0
	.set _Z14scatter_kernelIdL13ReductionType3EEvPKT_10TensorInfoIllEPS1_iiii.private_seg_size, 0
	.set _Z14scatter_kernelIdL13ReductionType3EEvPKT_10TensorInfoIllEPS1_iiii.uses_vcc, 1
	.set _Z14scatter_kernelIdL13ReductionType3EEvPKT_10TensorInfoIllEPS1_iiii.uses_flat_scratch, 0
	.set _Z14scatter_kernelIdL13ReductionType3EEvPKT_10TensorInfoIllEPS1_iiii.has_dyn_sized_stack, 0
	.set _Z14scatter_kernelIdL13ReductionType3EEvPKT_10TensorInfoIllEPS1_iiii.has_recursion, 0
	.set _Z14scatter_kernelIdL13ReductionType3EEvPKT_10TensorInfoIllEPS1_iiii.has_indirect_call, 0
	.section	.AMDGPU.csdata,"",@progbits
; Kernel info:
; codeLenInByte = 1544
; TotalNumSgprs: 40
; NumVgprs: 24
; ScratchSize: 0
; MemoryBound: 0
; FloatMode: 240
; IeeeMode: 1
; LDSByteSize: 0 bytes/workgroup (compile time only)
; SGPRBlocks: 0
; VGPRBlocks: 1
; NumSGPRsForWavesPerEU: 40
; NumVGPRsForWavesPerEU: 24
; NamedBarCnt: 0
; Occupancy: 16
; WaveLimiterHint : 1
; COMPUTE_PGM_RSRC2:SCRATCH_EN: 0
; COMPUTE_PGM_RSRC2:USER_SGPR: 2
; COMPUTE_PGM_RSRC2:TRAP_HANDLER: 0
; COMPUTE_PGM_RSRC2:TGID_X_EN: 1
; COMPUTE_PGM_RSRC2:TGID_Y_EN: 0
; COMPUTE_PGM_RSRC2:TGID_Z_EN: 0
; COMPUTE_PGM_RSRC2:TIDIG_COMP_CNT: 0
	.section	.text._Z14scatter_kernelIdL13ReductionType4EEvPKT_10TensorInfoIllEPS1_iiii,"axG",@progbits,_Z14scatter_kernelIdL13ReductionType4EEvPKT_10TensorInfoIllEPS1_iiii,comdat
	.protected	_Z14scatter_kernelIdL13ReductionType4EEvPKT_10TensorInfoIllEPS1_iiii ; -- Begin function _Z14scatter_kernelIdL13ReductionType4EEvPKT_10TensorInfoIllEPS1_iiii
	.globl	_Z14scatter_kernelIdL13ReductionType4EEvPKT_10TensorInfoIllEPS1_iiii
	.p2align	8
	.type	_Z14scatter_kernelIdL13ReductionType4EEvPKT_10TensorInfoIllEPS1_iiii,@function
_Z14scatter_kernelIdL13ReductionType4EEvPKT_10TensorInfoIllEPS1_iiii: ; @_Z14scatter_kernelIdL13ReductionType4EEvPKT_10TensorInfoIllEPS1_iiii
; %bb.0:
	s_clause 0x1
	s_load_b32 s2, s[0:1], 0x1cc
	s_load_b128 s[4:7], s[0:1], 0x1b0
	s_bfe_u32 s3, ttmp6, 0x4000c
	s_and_b32 s8, ttmp6, 15
	s_add_co_i32 s3, s3, 1
	s_getreg_b32 s9, hwreg(HW_REG_IB_STS2, 6, 4)
	s_mul_i32 s3, ttmp9, s3
	s_mov_b32 s11, 0
	s_add_co_i32 s8, s8, s3
	s_wait_kmcnt 0x0
	s_and_b32 s2, s2, 0xffff
	s_cmp_eq_u32 s9, 0
	s_cselect_b32 s3, ttmp9, s8
	s_delay_alu instid0(SALU_CYCLE_1) | instskip(SKIP_1) | instid1(VALU_DEP_1)
	v_mad_u32 v0, s3, s2, v0
	s_mov_b32 s2, exec_lo
	v_cmpx_gt_i32_e64 s7, v0
	s_cbranch_execz .LBB19_12
; %bb.1:
	s_abs_i32 s7, s5
	s_mul_i32 s24, s5, s4
	s_cvt_f32_u32 s2, s7
	s_abs_i32 s4, s24
	s_load_b32 s16, s[0:1], 0x1a0
	s_cvt_f32_u32 s3, s4
	v_rcp_iflag_f32_e32 v1, s2
	s_sub_co_i32 s10, 0, s7
	s_sub_co_i32 s12, 0, s4
	v_rcp_iflag_f32_e32 v2, s3
	v_mov_b64_e32 v[4:5], 0
	s_add_nc_u64 s[8:9], s[0:1], 8
	s_mov_b32 s13, s11
	v_readfirstlane_b32 s2, v1
	v_dual_mov_b32 v6, 0 :: v_dual_sub_nc_u32 v1, 0, v0
	s_delay_alu instid0(TRANS32_DEP_1) | instskip(SKIP_3) | instid1(SALU_CYCLE_1)
	v_readfirstlane_b32 s3, v2
	s_mul_f32 s2, s2, 0x4f7ffffe
	v_dual_mov_b32 v3, v6 :: v_dual_max_i32 v2, v0, v1
	s_mul_f32 s3, s3, 0x4f7ffffe
	s_cvt_u32_f32 s2, s2
	v_ashrrev_i32_e32 v1, 31, v0
	s_delay_alu instid0(SALU_CYCLE_1) | instskip(NEXT) | instid1(SALU_CYCLE_1)
	s_cvt_u32_f32 s3, s3
	s_mul_i32 s10, s10, s2
	s_delay_alu instid0(SALU_CYCLE_1) | instskip(NEXT) | instid1(SALU_CYCLE_1)
	s_mul_hi_u32 s10, s2, s10
	s_mul_i32 s12, s12, s3
	s_add_co_i32 s10, s2, s10
	s_mul_hi_u32 s2, s3, s12
	s_delay_alu instid0(SALU_CYCLE_1)
	s_add_co_i32 s12, s3, s2
	s_wait_kmcnt 0x0
	s_cmp_lt_i32 s16, 2
	s_cbranch_scc1 .LBB19_9
; %bb.2:
	s_add_co_i32 s2, s16, -1
	s_mov_b32 s3, 0
	v_mov_b64_e32 v[4:5], 0
	v_mov_b64_e32 v[8:9], v[0:1]
	s_lshl_b64 s[18:19], s[2:3], 3
	s_mov_b64 s[14:15], 0xffffffff
	s_add_nc_u64 s[18:19], s[8:9], s[18:19]
	s_add_co_i32 s25, s16, 1
	s_add_nc_u64 s[16:17], s[18:19], 8
.LBB19_3:                               ; =>This Inner Loop Header: Depth=1
	s_load_b64 s[18:19], s[16:17], 0x0
                                        ; implicit-def: $vgpr10_vgpr11
	s_mov_b32 s2, exec_lo
	s_wait_kmcnt 0x0
	s_delay_alu instid0(VALU_DEP_1) | instskip(NEXT) | instid1(VALU_DEP_1)
	v_or_b32_e32 v7, s19, v9
	v_cmpx_ne_u64_e32 0, v[6:7]
	s_xor_b32 s26, exec_lo, s2
	s_cbranch_execz .LBB19_5
; %bb.4:                                ;   in Loop: Header=BB19_3 Depth=1
	s_ashr_i32 s20, s19, 31
	v_dual_mov_b32 v15, v6 :: v_dual_ashrrev_i32 v10, 31, v9
	s_mov_b32 s21, s20
	v_mov_b32_e32 v23, v6
	s_add_nc_u64 s[22:23], s[18:19], s[20:21]
	s_delay_alu instid0(VALU_DEP_2) | instskip(SKIP_1) | instid1(SALU_CYCLE_1)
	v_mov_b32_e32 v11, v10
	s_xor_b64 s[22:23], s[22:23], s[20:21]
	s_cvt_f32_u32 s2, s22
	s_cvt_f32_u32 s21, s23
	s_sub_nc_u64 s[30:31], 0, s[22:23]
	v_add_nc_u64_e32 v[12:13], v[8:9], v[10:11]
	v_mov_b32_e32 v19, v6
	s_fmamk_f32 s2, s21, 0x4f800000, s2
	s_delay_alu instid0(SALU_CYCLE_3) | instskip(NEXT) | instid1(VALU_DEP_2)
	v_s_rcp_f32 s2, s2
	v_xor_b32_e32 v14, v12, v10
	s_delay_alu instid0(VALU_DEP_3) | instskip(NEXT) | instid1(TRANS32_DEP_1)
	v_xor_b32_e32 v18, v13, v10
	s_mul_f32 s2, s2, 0x5f7ffffc
	s_delay_alu instid0(SALU_CYCLE_3) | instskip(NEXT) | instid1(SALU_CYCLE_3)
	s_mul_f32 s21, s2, 0x2f800000
	s_trunc_f32 s21, s21
	s_delay_alu instid0(SALU_CYCLE_3) | instskip(SKIP_1) | instid1(SALU_CYCLE_2)
	s_fmamk_f32 s2, s21, 0xcf800000, s2
	s_cvt_u32_f32 s29, s21
	s_cvt_u32_f32 s28, s2
	s_delay_alu instid0(SALU_CYCLE_3) | instskip(NEXT) | instid1(SALU_CYCLE_1)
	s_mul_u64 s[34:35], s[30:31], s[28:29]
	s_mul_hi_u32 s37, s28, s35
	s_mul_i32 s36, s28, s35
	s_mul_hi_u32 s2, s28, s34
	s_mul_i32 s27, s29, s34
	s_add_nc_u64 s[36:37], s[2:3], s[36:37]
	s_mul_hi_u32 s21, s29, s34
	s_mul_hi_u32 s33, s29, s35
	s_add_co_u32 s2, s36, s27
	s_add_co_ci_u32 s2, s37, s21
	s_mul_i32 s34, s29, s35
	s_add_co_ci_u32 s35, s33, 0
	s_delay_alu instid0(SALU_CYCLE_1) | instskip(NEXT) | instid1(SALU_CYCLE_1)
	s_add_nc_u64 s[34:35], s[2:3], s[34:35]
	s_add_co_u32 s28, s28, s34
	s_cselect_b32 s2, -1, 0
	s_delay_alu instid0(SALU_CYCLE_1) | instskip(SKIP_1) | instid1(SALU_CYCLE_1)
	s_cmp_lg_u32 s2, 0
	s_add_co_ci_u32 s29, s29, s35
	s_mul_u64 s[30:31], s[30:31], s[28:29]
	s_delay_alu instid0(SALU_CYCLE_1)
	s_mul_hi_u32 s35, s28, s31
	s_mul_i32 s34, s28, s31
	s_mul_hi_u32 s2, s28, s30
	s_mul_i32 s27, s29, s30
	s_add_nc_u64 s[34:35], s[2:3], s[34:35]
	s_mul_hi_u32 s21, s29, s30
	s_mul_hi_u32 s33, s29, s31
	s_add_co_u32 s2, s34, s27
	s_add_co_ci_u32 s2, s35, s21
	s_mul_i32 s30, s29, s31
	s_add_co_ci_u32 s31, s33, 0
	s_delay_alu instid0(SALU_CYCLE_1) | instskip(NEXT) | instid1(SALU_CYCLE_1)
	s_add_nc_u64 s[30:31], s[2:3], s[30:31]
	s_add_co_u32 s28, s28, s30
	s_cselect_b32 s2, -1, 0
	v_mul_hi_u32 v22, v14, s28
	s_cmp_lg_u32 s2, 0
	s_add_co_ci_u32 s2, s29, s31
	s_and_b64 s[30:31], s[28:29], s[14:15]
	v_mul_u64_e32 v[16:17], s[2:3], v[14:15]
	v_mul_u64_e32 v[12:13], s[30:31], v[18:19]
	;; [unrolled: 1-line block ×3, first 2 shown]
	s_delay_alu instid0(VALU_DEP_3) | instskip(NEXT) | instid1(VALU_DEP_1)
	v_add_nc_u64_e32 v[16:17], v[22:23], v[16:17]
	v_add_co_u32 v7, vcc_lo, v16, v12
	s_delay_alu instid0(VALU_DEP_2) | instskip(NEXT) | instid1(VALU_DEP_4)
	v_add_co_ci_u32_e32 v22, vcc_lo, v17, v13, vcc_lo
	v_add_co_ci_u32_e32 v21, vcc_lo, 0, v21, vcc_lo
	s_delay_alu instid0(VALU_DEP_1) | instskip(NEXT) | instid1(VALU_DEP_1)
	v_add_nc_u64_e32 v[12:13], v[22:23], v[20:21]
	v_mul_u64_e32 v[16:17], s[22:23], v[12:13]
	s_delay_alu instid0(VALU_DEP_1) | instskip(NEXT) | instid1(VALU_DEP_2)
	v_sub_nc_u32_e32 v7, v18, v17
	v_sub_co_u32 v11, vcc_lo, v14, v16
	s_delay_alu instid0(VALU_DEP_1) | instskip(NEXT) | instid1(VALU_DEP_3)
	v_sub_co_ci_u32_e64 v18, null, v18, v17, vcc_lo
	v_subrev_co_ci_u32_e64 v7, null, s23, v7, vcc_lo
	s_delay_alu instid0(VALU_DEP_3) | instskip(SKIP_1) | instid1(VALU_DEP_3)
	v_sub_co_u32 v14, s2, v11, s22
	v_add_nc_u64_e32 v[16:17], 1, v[12:13]
	v_subrev_co_ci_u32_e64 v7, null, 0, v7, s2
	s_delay_alu instid0(VALU_DEP_3) | instskip(SKIP_1) | instid1(VALU_DEP_3)
	v_cmp_le_u32_e32 vcc_lo, s22, v14
	v_cndmask_b32_e64 v14, 0, -1, vcc_lo
	v_cmp_le_u32_e32 vcc_lo, s23, v7
	v_cndmask_b32_e64 v15, 0, -1, vcc_lo
	;; [unrolled: 2-line block ×4, first 2 shown]
	v_cmp_eq_u32_e32 vcc_lo, s23, v7
	v_cndmask_b32_e32 v7, v15, v14, vcc_lo
	v_cmp_eq_u32_e32 vcc_lo, s23, v18
	v_add_nc_u64_e32 v[14:15], 2, v[12:13]
	v_cndmask_b32_e32 v11, v19, v11, vcc_lo
	s_delay_alu instid0(VALU_DEP_4) | instskip(NEXT) | instid1(VALU_DEP_2)
	v_cmp_ne_u32_e32 vcc_lo, 0, v7
	v_cmp_ne_u32_e64 s2, 0, v11
	s_delay_alu instid0(VALU_DEP_4) | instskip(NEXT) | instid1(VALU_DEP_1)
	v_dual_cndmask_b32 v7, v17, v15, vcc_lo :: v_dual_cndmask_b32 v11, v16, v14, vcc_lo
	v_dual_cndmask_b32 v7, v13, v7, s2 :: v_dual_bitop2_b32 v10, s20, v10 bitop3:0x14
	s_delay_alu instid0(VALU_DEP_1) | instskip(NEXT) | instid1(VALU_DEP_2)
	v_dual_cndmask_b32 v12, v12, v11, s2 :: v_dual_mov_b32 v11, v10
	v_xor_b32_e32 v13, v7, v10
	s_delay_alu instid0(VALU_DEP_2) | instskip(NEXT) | instid1(VALU_DEP_1)
	v_xor_b32_e32 v12, v12, v10
	v_sub_nc_u64_e32 v[10:11], v[12:13], v[10:11]
.LBB19_5:                               ;   in Loop: Header=BB19_3 Depth=1
	s_and_not1_saveexec_b32 s2, s26
	s_cbranch_execz .LBB19_7
; %bb.6:                                ;   in Loop: Header=BB19_3 Depth=1
	v_cvt_f32_u32_e32 v7, s18
	s_sub_co_i32 s20, 0, s18
	s_delay_alu instid0(VALU_DEP_1) | instskip(SKIP_1) | instid1(TRANS32_DEP_1)
	v_rcp_iflag_f32_e32 v7, v7
	v_nop
	v_mul_f32_e32 v7, 0x4f7ffffe, v7
	s_delay_alu instid0(VALU_DEP_1) | instskip(NEXT) | instid1(VALU_DEP_1)
	v_cvt_u32_f32_e32 v7, v7
	v_mul_lo_u32 v10, s20, v7
	s_delay_alu instid0(VALU_DEP_1) | instskip(NEXT) | instid1(VALU_DEP_1)
	v_mul_hi_u32 v10, v7, v10
	v_add_nc_u32_e32 v7, v7, v10
	s_delay_alu instid0(VALU_DEP_1) | instskip(NEXT) | instid1(VALU_DEP_1)
	v_mul_hi_u32 v7, v8, v7
	v_mul_lo_u32 v10, v7, s18
	s_delay_alu instid0(VALU_DEP_1) | instskip(NEXT) | instid1(VALU_DEP_1)
	v_dual_add_nc_u32 v11, 1, v7 :: v_dual_sub_nc_u32 v10, v8, v10
	v_subrev_nc_u32_e32 v12, s18, v10
	v_cmp_le_u32_e32 vcc_lo, s18, v10
	s_delay_alu instid0(VALU_DEP_2) | instskip(NEXT) | instid1(VALU_DEP_1)
	v_dual_cndmask_b32 v10, v10, v12 :: v_dual_cndmask_b32 v7, v7, v11
	v_cmp_le_u32_e32 vcc_lo, s18, v10
	s_delay_alu instid0(VALU_DEP_2) | instskip(NEXT) | instid1(VALU_DEP_1)
	v_add_nc_u32_e32 v11, 1, v7
	v_dual_cndmask_b32 v10, v7, v11 :: v_dual_mov_b32 v11, v6
.LBB19_7:                               ;   in Loop: Header=BB19_3 Depth=1
	s_or_b32 exec_lo, exec_lo, s2
	s_delay_alu instid0(VALU_DEP_1)
	v_mul_u64_e32 v[12:13], s[18:19], v[10:11]
	s_load_b64 s[18:19], s[16:17], 0xc8
	s_add_co_i32 s25, s25, -1
	s_wait_xcnt 0x0
	s_add_nc_u64 s[16:17], s[16:17], -8
	s_cmp_gt_u32 s25, 2
	s_delay_alu instid0(VALU_DEP_1) | instskip(SKIP_1) | instid1(VALU_DEP_1)
	v_sub_nc_u64_e32 v[8:9], v[8:9], v[12:13]
	s_wait_kmcnt 0x0
	v_mad_nc_u64_u32 v[4:5], s18, v8, v[4:5]
	s_delay_alu instid0(VALU_DEP_1) | instskip(NEXT) | instid1(VALU_DEP_1)
	v_mad_u32 v5, s19, v8, v5
	v_mad_u32 v5, s18, v9, v5
	s_cbranch_scc0 .LBB19_10
; %bb.8:                                ;   in Loop: Header=BB19_3 Depth=1
	v_mov_b64_e32 v[8:9], v[10:11]
	s_branch .LBB19_3
.LBB19_9:
	v_mov_b64_e32 v[10:11], v[0:1]
.LBB19_10:
	v_mul_u64_e32 v[6:7], s[12:13], v[2:3]
	v_mul_u64_e32 v[8:9], s[10:11], v[2:3]
	s_clause 0x2
	s_load_b64 s[10:11], s[0:1], 0x1a8
	s_load_b32 s3, s[8:9], 0xd0
	s_load_b64 s[12:13], s[8:9], 0x0
	s_ashr_i32 s2, s24, 31
	s_wait_xcnt 0x0
	s_load_b64 s[0:1], s[0:1], 0x0
	s_wait_kmcnt 0x0
	v_mad_u32 v5, s3, v10, v4
	s_ashr_i32 s3, s5, 31
	s_delay_alu instid0(VALU_DEP_3) | instskip(SKIP_1) | instid1(VALU_DEP_4)
	v_mul_lo_u32 v3, v7, s4
	v_mov_b32_e32 v4, 0
	v_mul_lo_u32 v8, v9, s7
	s_delay_alu instid0(VALU_DEP_3) | instskip(NEXT) | instid1(VALU_DEP_3)
	v_sub_nc_u32_e32 v3, v2, v3
	v_ashrrev_i64 v[4:5], 29, v[4:5]
	s_delay_alu instid0(VALU_DEP_2) | instskip(SKIP_2) | instid1(VALU_DEP_4)
	v_subrev_nc_u32_e32 v9, s4, v3
	v_cmp_le_u32_e32 vcc_lo, s4, v3
	v_add_nc_u32_e32 v6, 1, v7
	v_add_nc_u64_e32 v[4:5], s[12:13], v[4:5]
	s_delay_alu instid0(VALU_DEP_4) | instskip(NEXT) | instid1(VALU_DEP_3)
	v_cndmask_b32_e32 v3, v3, v9, vcc_lo
	v_dual_cndmask_b32 v6, v7, v6, vcc_lo :: v_dual_bitop2_b32 v9, s2, v1 bitop3:0x14
	s_mov_b32 s2, s5
	global_load_b64 v[4:5], v[4:5], off
	v_cmp_le_u32_e32 vcc_lo, s4, v3
	v_add_nc_u32_e32 v7, 1, v6
	s_delay_alu instid0(VALU_DEP_1) | instskip(SKIP_1) | instid1(VALU_DEP_1)
	v_cndmask_b32_e32 v6, v6, v7, vcc_lo
	v_sub_nc_u32_e32 v7, v2, v8
	v_subrev_nc_u32_e32 v8, s7, v7
	v_cmp_le_u32_e32 vcc_lo, s7, v7
	s_delay_alu instid0(VALU_DEP_2) | instskip(NEXT) | instid1(VALU_DEP_1)
	v_dual_cndmask_b32 v8, v7, v8, vcc_lo :: v_dual_bitop2_b32 v6, v6, v9 bitop3:0x14
	v_cmp_le_u32_e32 vcc_lo, s7, v8
	s_wait_loadcnt 0x0
	v_mul_u64_e32 v[2:3], s[2:3], v[4:5]
	v_lshl_add_u64 v[4:5], v[0:1], 3, s[0:1]
	v_sub_nc_u32_e32 v0, v6, v9
	s_mul_i32 s0, s6, s5
	global_load_b64 v[6:7], v[4:5], off
	s_wait_xcnt 0x0
	v_mul_lo_u32 v4, s0, v0
	v_subrev_nc_u32_e32 v0, s7, v8
	s_mov_b32 s0, 0
	s_delay_alu instid0(VALU_DEP_1) | instskip(NEXT) | instid1(VALU_DEP_3)
	v_cndmask_b32_e32 v0, v8, v0, vcc_lo
	v_ashrrev_i32_e32 v5, 31, v4
	s_delay_alu instid0(VALU_DEP_1) | instskip(NEXT) | instid1(VALU_DEP_1)
	v_lshl_add_u64 v[4:5], v[4:5], 3, s[10:11]
	v_lshl_add_u64 v[2:3], v[2:3], 3, v[4:5]
	s_wait_loadcnt 0x0
	v_dual_max_num_f64 v[6:7], v[6:7], v[6:7] :: v_dual_bitop2_b32 v0, v0, v1 bitop3:0x14
	s_delay_alu instid0(VALU_DEP_1) | instskip(NEXT) | instid1(VALU_DEP_1)
	v_sub_nc_u32_e32 v0, v0, v1
	v_ashrrev_i32_e32 v1, 31, v0
	s_delay_alu instid0(VALU_DEP_1)
	v_lshl_add_u64 v[4:5], v[0:1], 3, v[2:3]
	global_load_b64 v[2:3], v[4:5], off scope:SCOPE_SYS
.LBB19_11:                              ; =>This Inner Loop Header: Depth=1
	s_wait_loadcnt 0x0
	s_delay_alu instid0(VALU_DEP_1) | instskip(NEXT) | instid1(VALU_DEP_1)
	v_max_num_f64_e32 v[0:1], v[2:3], v[2:3]
	v_max_num_f64_e32 v[0:1], v[0:1], v[6:7]
	global_atomic_cmpswap_b64 v[0:1], v[4:5], v[0:3], off th:TH_ATOMIC_RETURN scope:SCOPE_DEV
	s_wait_loadcnt 0x0
	v_cmp_eq_u64_e32 vcc_lo, v[2:3], v[0:1]
	v_mov_b64_e32 v[2:3], v[0:1]
	s_or_b32 s0, vcc_lo, s0
	s_delay_alu instid0(SALU_CYCLE_1)
	s_and_not1_b32 exec_lo, exec_lo, s0
	s_cbranch_execnz .LBB19_11
.LBB19_12:
	s_endpgm
	.section	.rodata,"a",@progbits
	.p2align	6, 0x0
	.amdhsa_kernel _Z14scatter_kernelIdL13ReductionType4EEvPKT_10TensorInfoIllEPS1_iiii
		.amdhsa_group_segment_fixed_size 0
		.amdhsa_private_segment_fixed_size 0
		.amdhsa_kernarg_size 704
		.amdhsa_user_sgpr_count 2
		.amdhsa_user_sgpr_dispatch_ptr 0
		.amdhsa_user_sgpr_queue_ptr 0
		.amdhsa_user_sgpr_kernarg_segment_ptr 1
		.amdhsa_user_sgpr_dispatch_id 0
		.amdhsa_user_sgpr_kernarg_preload_length 0
		.amdhsa_user_sgpr_kernarg_preload_offset 0
		.amdhsa_user_sgpr_private_segment_size 0
		.amdhsa_wavefront_size32 1
		.amdhsa_uses_dynamic_stack 0
		.amdhsa_enable_private_segment 0
		.amdhsa_system_sgpr_workgroup_id_x 1
		.amdhsa_system_sgpr_workgroup_id_y 0
		.amdhsa_system_sgpr_workgroup_id_z 0
		.amdhsa_system_sgpr_workgroup_info 0
		.amdhsa_system_vgpr_workitem_id 0
		.amdhsa_next_free_vgpr 24
		.amdhsa_next_free_sgpr 38
		.amdhsa_named_barrier_count 0
		.amdhsa_reserve_vcc 1
		.amdhsa_float_round_mode_32 0
		.amdhsa_float_round_mode_16_64 0
		.amdhsa_float_denorm_mode_32 3
		.amdhsa_float_denorm_mode_16_64 3
		.amdhsa_fp16_overflow 0
		.amdhsa_memory_ordered 1
		.amdhsa_forward_progress 1
		.amdhsa_inst_pref_size 13
		.amdhsa_round_robin_scheduling 0
		.amdhsa_exception_fp_ieee_invalid_op 0
		.amdhsa_exception_fp_denorm_src 0
		.amdhsa_exception_fp_ieee_div_zero 0
		.amdhsa_exception_fp_ieee_overflow 0
		.amdhsa_exception_fp_ieee_underflow 0
		.amdhsa_exception_fp_ieee_inexact 0
		.amdhsa_exception_int_div_zero 0
	.end_amdhsa_kernel
	.section	.text._Z14scatter_kernelIdL13ReductionType4EEvPKT_10TensorInfoIllEPS1_iiii,"axG",@progbits,_Z14scatter_kernelIdL13ReductionType4EEvPKT_10TensorInfoIllEPS1_iiii,comdat
.Lfunc_end19:
	.size	_Z14scatter_kernelIdL13ReductionType4EEvPKT_10TensorInfoIllEPS1_iiii, .Lfunc_end19-_Z14scatter_kernelIdL13ReductionType4EEvPKT_10TensorInfoIllEPS1_iiii
                                        ; -- End function
	.set _Z14scatter_kernelIdL13ReductionType4EEvPKT_10TensorInfoIllEPS1_iiii.num_vgpr, 24
	.set _Z14scatter_kernelIdL13ReductionType4EEvPKT_10TensorInfoIllEPS1_iiii.num_agpr, 0
	.set _Z14scatter_kernelIdL13ReductionType4EEvPKT_10TensorInfoIllEPS1_iiii.numbered_sgpr, 38
	.set _Z14scatter_kernelIdL13ReductionType4EEvPKT_10TensorInfoIllEPS1_iiii.num_named_barrier, 0
	.set _Z14scatter_kernelIdL13ReductionType4EEvPKT_10TensorInfoIllEPS1_iiii.private_seg_size, 0
	.set _Z14scatter_kernelIdL13ReductionType4EEvPKT_10TensorInfoIllEPS1_iiii.uses_vcc, 1
	.set _Z14scatter_kernelIdL13ReductionType4EEvPKT_10TensorInfoIllEPS1_iiii.uses_flat_scratch, 0
	.set _Z14scatter_kernelIdL13ReductionType4EEvPKT_10TensorInfoIllEPS1_iiii.has_dyn_sized_stack, 0
	.set _Z14scatter_kernelIdL13ReductionType4EEvPKT_10TensorInfoIllEPS1_iiii.has_recursion, 0
	.set _Z14scatter_kernelIdL13ReductionType4EEvPKT_10TensorInfoIllEPS1_iiii.has_indirect_call, 0
	.section	.AMDGPU.csdata,"",@progbits
; Kernel info:
; codeLenInByte = 1544
; TotalNumSgprs: 40
; NumVgprs: 24
; ScratchSize: 0
; MemoryBound: 0
; FloatMode: 240
; IeeeMode: 1
; LDSByteSize: 0 bytes/workgroup (compile time only)
; SGPRBlocks: 0
; VGPRBlocks: 1
; NumSGPRsForWavesPerEU: 40
; NumVGPRsForWavesPerEU: 24
; NamedBarCnt: 0
; Occupancy: 16
; WaveLimiterHint : 1
; COMPUTE_PGM_RSRC2:SCRATCH_EN: 0
; COMPUTE_PGM_RSRC2:USER_SGPR: 2
; COMPUTE_PGM_RSRC2:TRAP_HANDLER: 0
; COMPUTE_PGM_RSRC2:TGID_X_EN: 1
; COMPUTE_PGM_RSRC2:TGID_Y_EN: 0
; COMPUTE_PGM_RSRC2:TGID_Z_EN: 0
; COMPUTE_PGM_RSRC2:TIDIG_COMP_CNT: 0
	.section	.AMDGPU.gpr_maximums,"",@progbits
	.set amdgpu.max_num_vgpr, 0
	.set amdgpu.max_num_agpr, 0
	.set amdgpu.max_num_sgpr, 0
	.section	.AMDGPU.csdata,"",@progbits
	.type	__hip_cuid_70562da696a9bb2c,@object ; @__hip_cuid_70562da696a9bb2c
	.section	.bss,"aw",@nobits
	.globl	__hip_cuid_70562da696a9bb2c
__hip_cuid_70562da696a9bb2c:
	.byte	0                               ; 0x0
	.size	__hip_cuid_70562da696a9bb2c, 1

	.ident	"AMD clang version 22.0.0git (https://github.com/RadeonOpenCompute/llvm-project roc-7.2.4 26084 f58b06dce1f9c15707c5f808fd002e18c2accf7e)"
	.section	".note.GNU-stack","",@progbits
	.addrsig
	.addrsig_sym __hip_cuid_70562da696a9bb2c
	.amdgpu_metadata
---
amdhsa.kernels:
  - .args:
      - .address_space:  global
        .offset:         0
        .size:           8
        .value_kind:     global_buffer
      - .offset:         8
        .size:           416
        .value_kind:     by_value
      - .address_space:  global
        .offset:         424
        .size:           8
        .value_kind:     global_buffer
      - .offset:         432
        .size:           4
        .value_kind:     by_value
      - .offset:         436
        .size:           4
        .value_kind:     by_value
      - .offset:         440
        .size:           4
        .value_kind:     by_value
      - .offset:         444
        .size:           4
        .value_kind:     by_value
      - .offset:         448
        .size:           4
        .value_kind:     hidden_block_count_x
      - .offset:         452
        .size:           4
        .value_kind:     hidden_block_count_y
      - .offset:         456
        .size:           4
        .value_kind:     hidden_block_count_z
      - .offset:         460
        .size:           2
        .value_kind:     hidden_group_size_x
      - .offset:         462
        .size:           2
        .value_kind:     hidden_group_size_y
      - .offset:         464
        .size:           2
        .value_kind:     hidden_group_size_z
      - .offset:         466
        .size:           2
        .value_kind:     hidden_remainder_x
      - .offset:         468
        .size:           2
        .value_kind:     hidden_remainder_y
      - .offset:         470
        .size:           2
        .value_kind:     hidden_remainder_z
      - .offset:         488
        .size:           8
        .value_kind:     hidden_global_offset_x
      - .offset:         496
        .size:           8
        .value_kind:     hidden_global_offset_y
      - .offset:         504
        .size:           8
        .value_kind:     hidden_global_offset_z
      - .offset:         512
        .size:           2
        .value_kind:     hidden_grid_dims
    .group_segment_fixed_size: 0
    .kernarg_segment_align: 8
    .kernarg_segment_size: 704
    .language:       OpenCL C
    .language_version:
      - 2
      - 0
    .max_flat_workgroup_size: 1024
    .name:           _Z14scatter_kernelIiL13ReductionType1EEvPKT_10TensorInfoIllEPS1_iiii
    .private_segment_fixed_size: 0
    .sgpr_count:     40
    .sgpr_spill_count: 0
    .symbol:         _Z14scatter_kernelIiL13ReductionType1EEvPKT_10TensorInfoIllEPS1_iiii.kd
    .uniform_work_group_size: 1
    .uses_dynamic_stack: false
    .vgpr_count:     24
    .vgpr_spill_count: 0
    .wavefront_size: 32
  - .args:
      - .address_space:  global
        .offset:         0
        .size:           8
        .value_kind:     global_buffer
      - .offset:         8
        .size:           416
        .value_kind:     by_value
      - .address_space:  global
        .offset:         424
        .size:           8
        .value_kind:     global_buffer
      - .offset:         432
        .size:           4
        .value_kind:     by_value
      - .offset:         436
        .size:           4
        .value_kind:     by_value
      - .offset:         440
        .size:           4
        .value_kind:     by_value
      - .offset:         444
        .size:           4
        .value_kind:     by_value
      - .offset:         448
        .size:           4
        .value_kind:     hidden_block_count_x
      - .offset:         452
        .size:           4
        .value_kind:     hidden_block_count_y
      - .offset:         456
        .size:           4
        .value_kind:     hidden_block_count_z
      - .offset:         460
        .size:           2
        .value_kind:     hidden_group_size_x
      - .offset:         462
        .size:           2
        .value_kind:     hidden_group_size_y
      - .offset:         464
        .size:           2
        .value_kind:     hidden_group_size_z
      - .offset:         466
        .size:           2
        .value_kind:     hidden_remainder_x
      - .offset:         468
        .size:           2
        .value_kind:     hidden_remainder_y
      - .offset:         470
        .size:           2
        .value_kind:     hidden_remainder_z
      - .offset:         488
        .size:           8
        .value_kind:     hidden_global_offset_x
      - .offset:         496
        .size:           8
        .value_kind:     hidden_global_offset_y
      - .offset:         504
        .size:           8
        .value_kind:     hidden_global_offset_z
      - .offset:         512
        .size:           2
        .value_kind:     hidden_grid_dims
    .group_segment_fixed_size: 0
    .kernarg_segment_align: 8
    .kernarg_segment_size: 704
    .language:       OpenCL C
    .language_version:
      - 2
      - 0
    .max_flat_workgroup_size: 1024
    .name:           _Z14scatter_kernelIiL13ReductionType2EEvPKT_10TensorInfoIllEPS1_iiii
    .private_segment_fixed_size: 0
    .sgpr_count:     40
    .sgpr_spill_count: 0
    .symbol:         _Z14scatter_kernelIiL13ReductionType2EEvPKT_10TensorInfoIllEPS1_iiii.kd
    .uniform_work_group_size: 1
    .uses_dynamic_stack: false
    .vgpr_count:     24
    .vgpr_spill_count: 0
    .wavefront_size: 32
  - .args:
      - .address_space:  global
        .offset:         0
        .size:           8
        .value_kind:     global_buffer
      - .offset:         8
        .size:           416
        .value_kind:     by_value
      - .address_space:  global
        .offset:         424
        .size:           8
        .value_kind:     global_buffer
      - .offset:         432
        .size:           4
        .value_kind:     by_value
      - .offset:         436
        .size:           4
        .value_kind:     by_value
      - .offset:         440
        .size:           4
        .value_kind:     by_value
      - .offset:         444
        .size:           4
        .value_kind:     by_value
      - .offset:         448
        .size:           4
        .value_kind:     hidden_block_count_x
      - .offset:         452
        .size:           4
        .value_kind:     hidden_block_count_y
      - .offset:         456
        .size:           4
        .value_kind:     hidden_block_count_z
      - .offset:         460
        .size:           2
        .value_kind:     hidden_group_size_x
      - .offset:         462
        .size:           2
        .value_kind:     hidden_group_size_y
      - .offset:         464
        .size:           2
        .value_kind:     hidden_group_size_z
      - .offset:         466
        .size:           2
        .value_kind:     hidden_remainder_x
      - .offset:         468
        .size:           2
        .value_kind:     hidden_remainder_y
      - .offset:         470
        .size:           2
        .value_kind:     hidden_remainder_z
      - .offset:         488
        .size:           8
        .value_kind:     hidden_global_offset_x
      - .offset:         496
        .size:           8
        .value_kind:     hidden_global_offset_y
      - .offset:         504
        .size:           8
        .value_kind:     hidden_global_offset_z
      - .offset:         512
        .size:           2
        .value_kind:     hidden_grid_dims
    .group_segment_fixed_size: 0
    .kernarg_segment_align: 8
    .kernarg_segment_size: 704
    .language:       OpenCL C
    .language_version:
      - 2
      - 0
    .max_flat_workgroup_size: 1024
    .name:           _Z14scatter_kernelIiL13ReductionType0EEvPKT_10TensorInfoIllEPS1_iiii
    .private_segment_fixed_size: 0
    .sgpr_count:     40
    .sgpr_spill_count: 0
    .symbol:         _Z14scatter_kernelIiL13ReductionType0EEvPKT_10TensorInfoIllEPS1_iiii.kd
    .uniform_work_group_size: 1
    .uses_dynamic_stack: false
    .vgpr_count:     24
    .vgpr_spill_count: 0
    .wavefront_size: 32
  - .args:
      - .address_space:  global
        .offset:         0
        .size:           8
        .value_kind:     global_buffer
      - .offset:         8
        .size:           416
        .value_kind:     by_value
      - .address_space:  global
        .offset:         424
        .size:           8
        .value_kind:     global_buffer
      - .offset:         432
        .size:           4
        .value_kind:     by_value
      - .offset:         436
        .size:           4
        .value_kind:     by_value
      - .offset:         440
        .size:           4
        .value_kind:     by_value
      - .offset:         444
        .size:           4
        .value_kind:     by_value
      - .offset:         448
        .size:           4
        .value_kind:     hidden_block_count_x
      - .offset:         452
        .size:           4
        .value_kind:     hidden_block_count_y
      - .offset:         456
        .size:           4
        .value_kind:     hidden_block_count_z
      - .offset:         460
        .size:           2
        .value_kind:     hidden_group_size_x
      - .offset:         462
        .size:           2
        .value_kind:     hidden_group_size_y
      - .offset:         464
        .size:           2
        .value_kind:     hidden_group_size_z
      - .offset:         466
        .size:           2
        .value_kind:     hidden_remainder_x
      - .offset:         468
        .size:           2
        .value_kind:     hidden_remainder_y
      - .offset:         470
        .size:           2
        .value_kind:     hidden_remainder_z
      - .offset:         488
        .size:           8
        .value_kind:     hidden_global_offset_x
      - .offset:         496
        .size:           8
        .value_kind:     hidden_global_offset_y
      - .offset:         504
        .size:           8
        .value_kind:     hidden_global_offset_z
      - .offset:         512
        .size:           2
        .value_kind:     hidden_grid_dims
    .group_segment_fixed_size: 0
    .kernarg_segment_align: 8
    .kernarg_segment_size: 704
    .language:       OpenCL C
    .language_version:
      - 2
      - 0
    .max_flat_workgroup_size: 1024
    .name:           _Z14scatter_kernelIiL13ReductionType3EEvPKT_10TensorInfoIllEPS1_iiii
    .private_segment_fixed_size: 0
    .sgpr_count:     40
    .sgpr_spill_count: 0
    .symbol:         _Z14scatter_kernelIiL13ReductionType3EEvPKT_10TensorInfoIllEPS1_iiii.kd
    .uniform_work_group_size: 1
    .uses_dynamic_stack: false
    .vgpr_count:     24
    .vgpr_spill_count: 0
    .wavefront_size: 32
  - .args:
      - .address_space:  global
        .offset:         0
        .size:           8
        .value_kind:     global_buffer
      - .offset:         8
        .size:           416
        .value_kind:     by_value
      - .address_space:  global
        .offset:         424
        .size:           8
        .value_kind:     global_buffer
      - .offset:         432
        .size:           4
        .value_kind:     by_value
      - .offset:         436
        .size:           4
        .value_kind:     by_value
      - .offset:         440
        .size:           4
        .value_kind:     by_value
      - .offset:         444
        .size:           4
        .value_kind:     by_value
      - .offset:         448
        .size:           4
        .value_kind:     hidden_block_count_x
      - .offset:         452
        .size:           4
        .value_kind:     hidden_block_count_y
      - .offset:         456
        .size:           4
        .value_kind:     hidden_block_count_z
      - .offset:         460
        .size:           2
        .value_kind:     hidden_group_size_x
      - .offset:         462
        .size:           2
        .value_kind:     hidden_group_size_y
      - .offset:         464
        .size:           2
        .value_kind:     hidden_group_size_z
      - .offset:         466
        .size:           2
        .value_kind:     hidden_remainder_x
      - .offset:         468
        .size:           2
        .value_kind:     hidden_remainder_y
      - .offset:         470
        .size:           2
        .value_kind:     hidden_remainder_z
      - .offset:         488
        .size:           8
        .value_kind:     hidden_global_offset_x
      - .offset:         496
        .size:           8
        .value_kind:     hidden_global_offset_y
      - .offset:         504
        .size:           8
        .value_kind:     hidden_global_offset_z
      - .offset:         512
        .size:           2
        .value_kind:     hidden_grid_dims
    .group_segment_fixed_size: 0
    .kernarg_segment_align: 8
    .kernarg_segment_size: 704
    .language:       OpenCL C
    .language_version:
      - 2
      - 0
    .max_flat_workgroup_size: 1024
    .name:           _Z14scatter_kernelIiL13ReductionType4EEvPKT_10TensorInfoIllEPS1_iiii
    .private_segment_fixed_size: 0
    .sgpr_count:     40
    .sgpr_spill_count: 0
    .symbol:         _Z14scatter_kernelIiL13ReductionType4EEvPKT_10TensorInfoIllEPS1_iiii.kd
    .uniform_work_group_size: 1
    .uses_dynamic_stack: false
    .vgpr_count:     24
    .vgpr_spill_count: 0
    .wavefront_size: 32
  - .args:
      - .address_space:  global
        .offset:         0
        .size:           8
        .value_kind:     global_buffer
      - .offset:         8
        .size:           416
        .value_kind:     by_value
      - .address_space:  global
        .offset:         424
        .size:           8
        .value_kind:     global_buffer
      - .offset:         432
        .size:           4
        .value_kind:     by_value
      - .offset:         436
        .size:           4
        .value_kind:     by_value
      - .offset:         440
        .size:           4
        .value_kind:     by_value
      - .offset:         444
        .size:           4
        .value_kind:     by_value
      - .offset:         448
        .size:           4
        .value_kind:     hidden_block_count_x
      - .offset:         452
        .size:           4
        .value_kind:     hidden_block_count_y
      - .offset:         456
        .size:           4
        .value_kind:     hidden_block_count_z
      - .offset:         460
        .size:           2
        .value_kind:     hidden_group_size_x
      - .offset:         462
        .size:           2
        .value_kind:     hidden_group_size_y
      - .offset:         464
        .size:           2
        .value_kind:     hidden_group_size_z
      - .offset:         466
        .size:           2
        .value_kind:     hidden_remainder_x
      - .offset:         468
        .size:           2
        .value_kind:     hidden_remainder_y
      - .offset:         470
        .size:           2
        .value_kind:     hidden_remainder_z
      - .offset:         488
        .size:           8
        .value_kind:     hidden_global_offset_x
      - .offset:         496
        .size:           8
        .value_kind:     hidden_global_offset_y
      - .offset:         504
        .size:           8
        .value_kind:     hidden_global_offset_z
      - .offset:         512
        .size:           2
        .value_kind:     hidden_grid_dims
    .group_segment_fixed_size: 0
    .kernarg_segment_align: 8
    .kernarg_segment_size: 704
    .language:       OpenCL C
    .language_version:
      - 2
      - 0
    .max_flat_workgroup_size: 1024
    .name:           _Z14scatter_kernelIlL13ReductionType1EEvPKT_10TensorInfoIllEPS1_iiii
    .private_segment_fixed_size: 0
    .sgpr_count:     40
    .sgpr_spill_count: 0
    .symbol:         _Z14scatter_kernelIlL13ReductionType1EEvPKT_10TensorInfoIllEPS1_iiii.kd
    .uniform_work_group_size: 1
    .uses_dynamic_stack: false
    .vgpr_count:     24
    .vgpr_spill_count: 0
    .wavefront_size: 32
  - .args:
      - .address_space:  global
        .offset:         0
        .size:           8
        .value_kind:     global_buffer
      - .offset:         8
        .size:           416
        .value_kind:     by_value
      - .address_space:  global
        .offset:         424
        .size:           8
        .value_kind:     global_buffer
      - .offset:         432
        .size:           4
        .value_kind:     by_value
      - .offset:         436
        .size:           4
        .value_kind:     by_value
      - .offset:         440
        .size:           4
        .value_kind:     by_value
      - .offset:         444
        .size:           4
        .value_kind:     by_value
      - .offset:         448
        .size:           4
        .value_kind:     hidden_block_count_x
      - .offset:         452
        .size:           4
        .value_kind:     hidden_block_count_y
      - .offset:         456
        .size:           4
        .value_kind:     hidden_block_count_z
      - .offset:         460
        .size:           2
        .value_kind:     hidden_group_size_x
      - .offset:         462
        .size:           2
        .value_kind:     hidden_group_size_y
      - .offset:         464
        .size:           2
        .value_kind:     hidden_group_size_z
      - .offset:         466
        .size:           2
        .value_kind:     hidden_remainder_x
      - .offset:         468
        .size:           2
        .value_kind:     hidden_remainder_y
      - .offset:         470
        .size:           2
        .value_kind:     hidden_remainder_z
      - .offset:         488
        .size:           8
        .value_kind:     hidden_global_offset_x
      - .offset:         496
        .size:           8
        .value_kind:     hidden_global_offset_y
      - .offset:         504
        .size:           8
        .value_kind:     hidden_global_offset_z
      - .offset:         512
        .size:           2
        .value_kind:     hidden_grid_dims
    .group_segment_fixed_size: 0
    .kernarg_segment_align: 8
    .kernarg_segment_size: 704
    .language:       OpenCL C
    .language_version:
      - 2
      - 0
    .max_flat_workgroup_size: 1024
    .name:           _Z14scatter_kernelIlL13ReductionType2EEvPKT_10TensorInfoIllEPS1_iiii
    .private_segment_fixed_size: 0
    .sgpr_count:     40
    .sgpr_spill_count: 0
    .symbol:         _Z14scatter_kernelIlL13ReductionType2EEvPKT_10TensorInfoIllEPS1_iiii.kd
    .uniform_work_group_size: 1
    .uses_dynamic_stack: false
    .vgpr_count:     28
    .vgpr_spill_count: 0
    .wavefront_size: 32
  - .args:
      - .address_space:  global
        .offset:         0
        .size:           8
        .value_kind:     global_buffer
      - .offset:         8
        .size:           416
        .value_kind:     by_value
      - .address_space:  global
        .offset:         424
        .size:           8
        .value_kind:     global_buffer
      - .offset:         432
        .size:           4
        .value_kind:     by_value
      - .offset:         436
        .size:           4
        .value_kind:     by_value
      - .offset:         440
        .size:           4
        .value_kind:     by_value
      - .offset:         444
        .size:           4
        .value_kind:     by_value
      - .offset:         448
        .size:           4
        .value_kind:     hidden_block_count_x
      - .offset:         452
        .size:           4
        .value_kind:     hidden_block_count_y
      - .offset:         456
        .size:           4
        .value_kind:     hidden_block_count_z
      - .offset:         460
        .size:           2
        .value_kind:     hidden_group_size_x
      - .offset:         462
        .size:           2
        .value_kind:     hidden_group_size_y
      - .offset:         464
        .size:           2
        .value_kind:     hidden_group_size_z
      - .offset:         466
        .size:           2
        .value_kind:     hidden_remainder_x
      - .offset:         468
        .size:           2
        .value_kind:     hidden_remainder_y
      - .offset:         470
        .size:           2
        .value_kind:     hidden_remainder_z
      - .offset:         488
        .size:           8
        .value_kind:     hidden_global_offset_x
      - .offset:         496
        .size:           8
        .value_kind:     hidden_global_offset_y
      - .offset:         504
        .size:           8
        .value_kind:     hidden_global_offset_z
      - .offset:         512
        .size:           2
        .value_kind:     hidden_grid_dims
    .group_segment_fixed_size: 0
    .kernarg_segment_align: 8
    .kernarg_segment_size: 704
    .language:       OpenCL C
    .language_version:
      - 2
      - 0
    .max_flat_workgroup_size: 1024
    .name:           _Z14scatter_kernelIlL13ReductionType0EEvPKT_10TensorInfoIllEPS1_iiii
    .private_segment_fixed_size: 0
    .sgpr_count:     40
    .sgpr_spill_count: 0
    .symbol:         _Z14scatter_kernelIlL13ReductionType0EEvPKT_10TensorInfoIllEPS1_iiii.kd
    .uniform_work_group_size: 1
    .uses_dynamic_stack: false
    .vgpr_count:     24
    .vgpr_spill_count: 0
    .wavefront_size: 32
  - .args:
      - .address_space:  global
        .offset:         0
        .size:           8
        .value_kind:     global_buffer
      - .offset:         8
        .size:           416
        .value_kind:     by_value
      - .address_space:  global
        .offset:         424
        .size:           8
        .value_kind:     global_buffer
      - .offset:         432
        .size:           4
        .value_kind:     by_value
      - .offset:         436
        .size:           4
        .value_kind:     by_value
      - .offset:         440
        .size:           4
        .value_kind:     by_value
      - .offset:         444
        .size:           4
        .value_kind:     by_value
      - .offset:         448
        .size:           4
        .value_kind:     hidden_block_count_x
      - .offset:         452
        .size:           4
        .value_kind:     hidden_block_count_y
      - .offset:         456
        .size:           4
        .value_kind:     hidden_block_count_z
      - .offset:         460
        .size:           2
        .value_kind:     hidden_group_size_x
      - .offset:         462
        .size:           2
        .value_kind:     hidden_group_size_y
      - .offset:         464
        .size:           2
        .value_kind:     hidden_group_size_z
      - .offset:         466
        .size:           2
        .value_kind:     hidden_remainder_x
      - .offset:         468
        .size:           2
        .value_kind:     hidden_remainder_y
      - .offset:         470
        .size:           2
        .value_kind:     hidden_remainder_z
      - .offset:         488
        .size:           8
        .value_kind:     hidden_global_offset_x
      - .offset:         496
        .size:           8
        .value_kind:     hidden_global_offset_y
      - .offset:         504
        .size:           8
        .value_kind:     hidden_global_offset_z
      - .offset:         512
        .size:           2
        .value_kind:     hidden_grid_dims
    .group_segment_fixed_size: 0
    .kernarg_segment_align: 8
    .kernarg_segment_size: 704
    .language:       OpenCL C
    .language_version:
      - 2
      - 0
    .max_flat_workgroup_size: 1024
    .name:           _Z14scatter_kernelIlL13ReductionType3EEvPKT_10TensorInfoIllEPS1_iiii
    .private_segment_fixed_size: 0
    .sgpr_count:     40
    .sgpr_spill_count: 0
    .symbol:         _Z14scatter_kernelIlL13ReductionType3EEvPKT_10TensorInfoIllEPS1_iiii.kd
    .uniform_work_group_size: 1
    .uses_dynamic_stack: false
    .vgpr_count:     24
    .vgpr_spill_count: 0
    .wavefront_size: 32
  - .args:
      - .address_space:  global
        .offset:         0
        .size:           8
        .value_kind:     global_buffer
      - .offset:         8
        .size:           416
        .value_kind:     by_value
      - .address_space:  global
        .offset:         424
        .size:           8
        .value_kind:     global_buffer
      - .offset:         432
        .size:           4
        .value_kind:     by_value
      - .offset:         436
        .size:           4
        .value_kind:     by_value
      - .offset:         440
        .size:           4
        .value_kind:     by_value
      - .offset:         444
        .size:           4
        .value_kind:     by_value
      - .offset:         448
        .size:           4
        .value_kind:     hidden_block_count_x
      - .offset:         452
        .size:           4
        .value_kind:     hidden_block_count_y
      - .offset:         456
        .size:           4
        .value_kind:     hidden_block_count_z
      - .offset:         460
        .size:           2
        .value_kind:     hidden_group_size_x
      - .offset:         462
        .size:           2
        .value_kind:     hidden_group_size_y
      - .offset:         464
        .size:           2
        .value_kind:     hidden_group_size_z
      - .offset:         466
        .size:           2
        .value_kind:     hidden_remainder_x
      - .offset:         468
        .size:           2
        .value_kind:     hidden_remainder_y
      - .offset:         470
        .size:           2
        .value_kind:     hidden_remainder_z
      - .offset:         488
        .size:           8
        .value_kind:     hidden_global_offset_x
      - .offset:         496
        .size:           8
        .value_kind:     hidden_global_offset_y
      - .offset:         504
        .size:           8
        .value_kind:     hidden_global_offset_z
      - .offset:         512
        .size:           2
        .value_kind:     hidden_grid_dims
    .group_segment_fixed_size: 0
    .kernarg_segment_align: 8
    .kernarg_segment_size: 704
    .language:       OpenCL C
    .language_version:
      - 2
      - 0
    .max_flat_workgroup_size: 1024
    .name:           _Z14scatter_kernelIlL13ReductionType4EEvPKT_10TensorInfoIllEPS1_iiii
    .private_segment_fixed_size: 0
    .sgpr_count:     40
    .sgpr_spill_count: 0
    .symbol:         _Z14scatter_kernelIlL13ReductionType4EEvPKT_10TensorInfoIllEPS1_iiii.kd
    .uniform_work_group_size: 1
    .uses_dynamic_stack: false
    .vgpr_count:     24
    .vgpr_spill_count: 0
    .wavefront_size: 32
  - .args:
      - .address_space:  global
        .offset:         0
        .size:           8
        .value_kind:     global_buffer
      - .offset:         8
        .size:           416
        .value_kind:     by_value
      - .address_space:  global
        .offset:         424
        .size:           8
        .value_kind:     global_buffer
      - .offset:         432
        .size:           4
        .value_kind:     by_value
      - .offset:         436
        .size:           4
        .value_kind:     by_value
      - .offset:         440
        .size:           4
        .value_kind:     by_value
      - .offset:         444
        .size:           4
        .value_kind:     by_value
      - .offset:         448
        .size:           4
        .value_kind:     hidden_block_count_x
      - .offset:         452
        .size:           4
        .value_kind:     hidden_block_count_y
      - .offset:         456
        .size:           4
        .value_kind:     hidden_block_count_z
      - .offset:         460
        .size:           2
        .value_kind:     hidden_group_size_x
      - .offset:         462
        .size:           2
        .value_kind:     hidden_group_size_y
      - .offset:         464
        .size:           2
        .value_kind:     hidden_group_size_z
      - .offset:         466
        .size:           2
        .value_kind:     hidden_remainder_x
      - .offset:         468
        .size:           2
        .value_kind:     hidden_remainder_y
      - .offset:         470
        .size:           2
        .value_kind:     hidden_remainder_z
      - .offset:         488
        .size:           8
        .value_kind:     hidden_global_offset_x
      - .offset:         496
        .size:           8
        .value_kind:     hidden_global_offset_y
      - .offset:         504
        .size:           8
        .value_kind:     hidden_global_offset_z
      - .offset:         512
        .size:           2
        .value_kind:     hidden_grid_dims
    .group_segment_fixed_size: 0
    .kernarg_segment_align: 8
    .kernarg_segment_size: 704
    .language:       OpenCL C
    .language_version:
      - 2
      - 0
    .max_flat_workgroup_size: 1024
    .name:           _Z14scatter_kernelIfL13ReductionType1EEvPKT_10TensorInfoIllEPS1_iiii
    .private_segment_fixed_size: 0
    .sgpr_count:     40
    .sgpr_spill_count: 0
    .symbol:         _Z14scatter_kernelIfL13ReductionType1EEvPKT_10TensorInfoIllEPS1_iiii.kd
    .uniform_work_group_size: 1
    .uses_dynamic_stack: false
    .vgpr_count:     24
    .vgpr_spill_count: 0
    .wavefront_size: 32
  - .args:
      - .address_space:  global
        .offset:         0
        .size:           8
        .value_kind:     global_buffer
      - .offset:         8
        .size:           416
        .value_kind:     by_value
      - .address_space:  global
        .offset:         424
        .size:           8
        .value_kind:     global_buffer
      - .offset:         432
        .size:           4
        .value_kind:     by_value
      - .offset:         436
        .size:           4
        .value_kind:     by_value
      - .offset:         440
        .size:           4
        .value_kind:     by_value
      - .offset:         444
        .size:           4
        .value_kind:     by_value
      - .offset:         448
        .size:           4
        .value_kind:     hidden_block_count_x
      - .offset:         452
        .size:           4
        .value_kind:     hidden_block_count_y
      - .offset:         456
        .size:           4
        .value_kind:     hidden_block_count_z
      - .offset:         460
        .size:           2
        .value_kind:     hidden_group_size_x
      - .offset:         462
        .size:           2
        .value_kind:     hidden_group_size_y
      - .offset:         464
        .size:           2
        .value_kind:     hidden_group_size_z
      - .offset:         466
        .size:           2
        .value_kind:     hidden_remainder_x
      - .offset:         468
        .size:           2
        .value_kind:     hidden_remainder_y
      - .offset:         470
        .size:           2
        .value_kind:     hidden_remainder_z
      - .offset:         488
        .size:           8
        .value_kind:     hidden_global_offset_x
      - .offset:         496
        .size:           8
        .value_kind:     hidden_global_offset_y
      - .offset:         504
        .size:           8
        .value_kind:     hidden_global_offset_z
      - .offset:         512
        .size:           2
        .value_kind:     hidden_grid_dims
    .group_segment_fixed_size: 0
    .kernarg_segment_align: 8
    .kernarg_segment_size: 704
    .language:       OpenCL C
    .language_version:
      - 2
      - 0
    .max_flat_workgroup_size: 1024
    .name:           _Z14scatter_kernelIfL13ReductionType2EEvPKT_10TensorInfoIllEPS1_iiii
    .private_segment_fixed_size: 0
    .sgpr_count:     40
    .sgpr_spill_count: 0
    .symbol:         _Z14scatter_kernelIfL13ReductionType2EEvPKT_10TensorInfoIllEPS1_iiii.kd
    .uniform_work_group_size: 1
    .uses_dynamic_stack: false
    .vgpr_count:     24
    .vgpr_spill_count: 0
    .wavefront_size: 32
  - .args:
      - .address_space:  global
        .offset:         0
        .size:           8
        .value_kind:     global_buffer
      - .offset:         8
        .size:           416
        .value_kind:     by_value
      - .address_space:  global
        .offset:         424
        .size:           8
        .value_kind:     global_buffer
      - .offset:         432
        .size:           4
        .value_kind:     by_value
      - .offset:         436
        .size:           4
        .value_kind:     by_value
      - .offset:         440
        .size:           4
        .value_kind:     by_value
      - .offset:         444
        .size:           4
        .value_kind:     by_value
      - .offset:         448
        .size:           4
        .value_kind:     hidden_block_count_x
      - .offset:         452
        .size:           4
        .value_kind:     hidden_block_count_y
      - .offset:         456
        .size:           4
        .value_kind:     hidden_block_count_z
      - .offset:         460
        .size:           2
        .value_kind:     hidden_group_size_x
      - .offset:         462
        .size:           2
        .value_kind:     hidden_group_size_y
      - .offset:         464
        .size:           2
        .value_kind:     hidden_group_size_z
      - .offset:         466
        .size:           2
        .value_kind:     hidden_remainder_x
      - .offset:         468
        .size:           2
        .value_kind:     hidden_remainder_y
      - .offset:         470
        .size:           2
        .value_kind:     hidden_remainder_z
      - .offset:         488
        .size:           8
        .value_kind:     hidden_global_offset_x
      - .offset:         496
        .size:           8
        .value_kind:     hidden_global_offset_y
      - .offset:         504
        .size:           8
        .value_kind:     hidden_global_offset_z
      - .offset:         512
        .size:           2
        .value_kind:     hidden_grid_dims
    .group_segment_fixed_size: 0
    .kernarg_segment_align: 8
    .kernarg_segment_size: 704
    .language:       OpenCL C
    .language_version:
      - 2
      - 0
    .max_flat_workgroup_size: 1024
    .name:           _Z14scatter_kernelIfL13ReductionType0EEvPKT_10TensorInfoIllEPS1_iiii
    .private_segment_fixed_size: 0
    .sgpr_count:     40
    .sgpr_spill_count: 0
    .symbol:         _Z14scatter_kernelIfL13ReductionType0EEvPKT_10TensorInfoIllEPS1_iiii.kd
    .uniform_work_group_size: 1
    .uses_dynamic_stack: false
    .vgpr_count:     24
    .vgpr_spill_count: 0
    .wavefront_size: 32
  - .args:
      - .address_space:  global
        .offset:         0
        .size:           8
        .value_kind:     global_buffer
      - .offset:         8
        .size:           416
        .value_kind:     by_value
      - .address_space:  global
        .offset:         424
        .size:           8
        .value_kind:     global_buffer
      - .offset:         432
        .size:           4
        .value_kind:     by_value
      - .offset:         436
        .size:           4
        .value_kind:     by_value
      - .offset:         440
        .size:           4
        .value_kind:     by_value
      - .offset:         444
        .size:           4
        .value_kind:     by_value
      - .offset:         448
        .size:           4
        .value_kind:     hidden_block_count_x
      - .offset:         452
        .size:           4
        .value_kind:     hidden_block_count_y
      - .offset:         456
        .size:           4
        .value_kind:     hidden_block_count_z
      - .offset:         460
        .size:           2
        .value_kind:     hidden_group_size_x
      - .offset:         462
        .size:           2
        .value_kind:     hidden_group_size_y
      - .offset:         464
        .size:           2
        .value_kind:     hidden_group_size_z
      - .offset:         466
        .size:           2
        .value_kind:     hidden_remainder_x
      - .offset:         468
        .size:           2
        .value_kind:     hidden_remainder_y
      - .offset:         470
        .size:           2
        .value_kind:     hidden_remainder_z
      - .offset:         488
        .size:           8
        .value_kind:     hidden_global_offset_x
      - .offset:         496
        .size:           8
        .value_kind:     hidden_global_offset_y
      - .offset:         504
        .size:           8
        .value_kind:     hidden_global_offset_z
      - .offset:         512
        .size:           2
        .value_kind:     hidden_grid_dims
    .group_segment_fixed_size: 0
    .kernarg_segment_align: 8
    .kernarg_segment_size: 704
    .language:       OpenCL C
    .language_version:
      - 2
      - 0
    .max_flat_workgroup_size: 1024
    .name:           _Z14scatter_kernelIfL13ReductionType3EEvPKT_10TensorInfoIllEPS1_iiii
    .private_segment_fixed_size: 0
    .sgpr_count:     40
    .sgpr_spill_count: 0
    .symbol:         _Z14scatter_kernelIfL13ReductionType3EEvPKT_10TensorInfoIllEPS1_iiii.kd
    .uniform_work_group_size: 1
    .uses_dynamic_stack: false
    .vgpr_count:     24
    .vgpr_spill_count: 0
    .wavefront_size: 32
  - .args:
      - .address_space:  global
        .offset:         0
        .size:           8
        .value_kind:     global_buffer
      - .offset:         8
        .size:           416
        .value_kind:     by_value
      - .address_space:  global
        .offset:         424
        .size:           8
        .value_kind:     global_buffer
      - .offset:         432
        .size:           4
        .value_kind:     by_value
      - .offset:         436
        .size:           4
        .value_kind:     by_value
      - .offset:         440
        .size:           4
        .value_kind:     by_value
      - .offset:         444
        .size:           4
        .value_kind:     by_value
      - .offset:         448
        .size:           4
        .value_kind:     hidden_block_count_x
      - .offset:         452
        .size:           4
        .value_kind:     hidden_block_count_y
      - .offset:         456
        .size:           4
        .value_kind:     hidden_block_count_z
      - .offset:         460
        .size:           2
        .value_kind:     hidden_group_size_x
      - .offset:         462
        .size:           2
        .value_kind:     hidden_group_size_y
      - .offset:         464
        .size:           2
        .value_kind:     hidden_group_size_z
      - .offset:         466
        .size:           2
        .value_kind:     hidden_remainder_x
      - .offset:         468
        .size:           2
        .value_kind:     hidden_remainder_y
      - .offset:         470
        .size:           2
        .value_kind:     hidden_remainder_z
      - .offset:         488
        .size:           8
        .value_kind:     hidden_global_offset_x
      - .offset:         496
        .size:           8
        .value_kind:     hidden_global_offset_y
      - .offset:         504
        .size:           8
        .value_kind:     hidden_global_offset_z
      - .offset:         512
        .size:           2
        .value_kind:     hidden_grid_dims
    .group_segment_fixed_size: 0
    .kernarg_segment_align: 8
    .kernarg_segment_size: 704
    .language:       OpenCL C
    .language_version:
      - 2
      - 0
    .max_flat_workgroup_size: 1024
    .name:           _Z14scatter_kernelIfL13ReductionType4EEvPKT_10TensorInfoIllEPS1_iiii
    .private_segment_fixed_size: 0
    .sgpr_count:     40
    .sgpr_spill_count: 0
    .symbol:         _Z14scatter_kernelIfL13ReductionType4EEvPKT_10TensorInfoIllEPS1_iiii.kd
    .uniform_work_group_size: 1
    .uses_dynamic_stack: false
    .vgpr_count:     24
    .vgpr_spill_count: 0
    .wavefront_size: 32
  - .args:
      - .address_space:  global
        .offset:         0
        .size:           8
        .value_kind:     global_buffer
      - .offset:         8
        .size:           416
        .value_kind:     by_value
      - .address_space:  global
        .offset:         424
        .size:           8
        .value_kind:     global_buffer
      - .offset:         432
        .size:           4
        .value_kind:     by_value
      - .offset:         436
        .size:           4
        .value_kind:     by_value
      - .offset:         440
        .size:           4
        .value_kind:     by_value
      - .offset:         444
        .size:           4
        .value_kind:     by_value
      - .offset:         448
        .size:           4
        .value_kind:     hidden_block_count_x
      - .offset:         452
        .size:           4
        .value_kind:     hidden_block_count_y
      - .offset:         456
        .size:           4
        .value_kind:     hidden_block_count_z
      - .offset:         460
        .size:           2
        .value_kind:     hidden_group_size_x
      - .offset:         462
        .size:           2
        .value_kind:     hidden_group_size_y
      - .offset:         464
        .size:           2
        .value_kind:     hidden_group_size_z
      - .offset:         466
        .size:           2
        .value_kind:     hidden_remainder_x
      - .offset:         468
        .size:           2
        .value_kind:     hidden_remainder_y
      - .offset:         470
        .size:           2
        .value_kind:     hidden_remainder_z
      - .offset:         488
        .size:           8
        .value_kind:     hidden_global_offset_x
      - .offset:         496
        .size:           8
        .value_kind:     hidden_global_offset_y
      - .offset:         504
        .size:           8
        .value_kind:     hidden_global_offset_z
      - .offset:         512
        .size:           2
        .value_kind:     hidden_grid_dims
    .group_segment_fixed_size: 0
    .kernarg_segment_align: 8
    .kernarg_segment_size: 704
    .language:       OpenCL C
    .language_version:
      - 2
      - 0
    .max_flat_workgroup_size: 1024
    .name:           _Z14scatter_kernelIdL13ReductionType1EEvPKT_10TensorInfoIllEPS1_iiii
    .private_segment_fixed_size: 0
    .sgpr_count:     40
    .sgpr_spill_count: 0
    .symbol:         _Z14scatter_kernelIdL13ReductionType1EEvPKT_10TensorInfoIllEPS1_iiii.kd
    .uniform_work_group_size: 1
    .uses_dynamic_stack: false
    .vgpr_count:     24
    .vgpr_spill_count: 0
    .wavefront_size: 32
  - .args:
      - .address_space:  global
        .offset:         0
        .size:           8
        .value_kind:     global_buffer
      - .offset:         8
        .size:           416
        .value_kind:     by_value
      - .address_space:  global
        .offset:         424
        .size:           8
        .value_kind:     global_buffer
      - .offset:         432
        .size:           4
        .value_kind:     by_value
      - .offset:         436
        .size:           4
        .value_kind:     by_value
      - .offset:         440
        .size:           4
        .value_kind:     by_value
      - .offset:         444
        .size:           4
        .value_kind:     by_value
      - .offset:         448
        .size:           4
        .value_kind:     hidden_block_count_x
      - .offset:         452
        .size:           4
        .value_kind:     hidden_block_count_y
      - .offset:         456
        .size:           4
        .value_kind:     hidden_block_count_z
      - .offset:         460
        .size:           2
        .value_kind:     hidden_group_size_x
      - .offset:         462
        .size:           2
        .value_kind:     hidden_group_size_y
      - .offset:         464
        .size:           2
        .value_kind:     hidden_group_size_z
      - .offset:         466
        .size:           2
        .value_kind:     hidden_remainder_x
      - .offset:         468
        .size:           2
        .value_kind:     hidden_remainder_y
      - .offset:         470
        .size:           2
        .value_kind:     hidden_remainder_z
      - .offset:         488
        .size:           8
        .value_kind:     hidden_global_offset_x
      - .offset:         496
        .size:           8
        .value_kind:     hidden_global_offset_y
      - .offset:         504
        .size:           8
        .value_kind:     hidden_global_offset_z
      - .offset:         512
        .size:           2
        .value_kind:     hidden_grid_dims
    .group_segment_fixed_size: 0
    .kernarg_segment_align: 8
    .kernarg_segment_size: 704
    .language:       OpenCL C
    .language_version:
      - 2
      - 0
    .max_flat_workgroup_size: 1024
    .name:           _Z14scatter_kernelIdL13ReductionType2EEvPKT_10TensorInfoIllEPS1_iiii
    .private_segment_fixed_size: 0
    .sgpr_count:     40
    .sgpr_spill_count: 0
    .symbol:         _Z14scatter_kernelIdL13ReductionType2EEvPKT_10TensorInfoIllEPS1_iiii.kd
    .uniform_work_group_size: 1
    .uses_dynamic_stack: false
    .vgpr_count:     24
    .vgpr_spill_count: 0
    .wavefront_size: 32
  - .args:
      - .address_space:  global
        .offset:         0
        .size:           8
        .value_kind:     global_buffer
      - .offset:         8
        .size:           416
        .value_kind:     by_value
      - .address_space:  global
        .offset:         424
        .size:           8
        .value_kind:     global_buffer
      - .offset:         432
        .size:           4
        .value_kind:     by_value
      - .offset:         436
        .size:           4
        .value_kind:     by_value
      - .offset:         440
        .size:           4
        .value_kind:     by_value
      - .offset:         444
        .size:           4
        .value_kind:     by_value
      - .offset:         448
        .size:           4
        .value_kind:     hidden_block_count_x
      - .offset:         452
        .size:           4
        .value_kind:     hidden_block_count_y
      - .offset:         456
        .size:           4
        .value_kind:     hidden_block_count_z
      - .offset:         460
        .size:           2
        .value_kind:     hidden_group_size_x
      - .offset:         462
        .size:           2
        .value_kind:     hidden_group_size_y
      - .offset:         464
        .size:           2
        .value_kind:     hidden_group_size_z
      - .offset:         466
        .size:           2
        .value_kind:     hidden_remainder_x
      - .offset:         468
        .size:           2
        .value_kind:     hidden_remainder_y
      - .offset:         470
        .size:           2
        .value_kind:     hidden_remainder_z
      - .offset:         488
        .size:           8
        .value_kind:     hidden_global_offset_x
      - .offset:         496
        .size:           8
        .value_kind:     hidden_global_offset_y
      - .offset:         504
        .size:           8
        .value_kind:     hidden_global_offset_z
      - .offset:         512
        .size:           2
        .value_kind:     hidden_grid_dims
    .group_segment_fixed_size: 0
    .kernarg_segment_align: 8
    .kernarg_segment_size: 704
    .language:       OpenCL C
    .language_version:
      - 2
      - 0
    .max_flat_workgroup_size: 1024
    .name:           _Z14scatter_kernelIdL13ReductionType0EEvPKT_10TensorInfoIllEPS1_iiii
    .private_segment_fixed_size: 0
    .sgpr_count:     40
    .sgpr_spill_count: 0
    .symbol:         _Z14scatter_kernelIdL13ReductionType0EEvPKT_10TensorInfoIllEPS1_iiii.kd
    .uniform_work_group_size: 1
    .uses_dynamic_stack: false
    .vgpr_count:     24
    .vgpr_spill_count: 0
    .wavefront_size: 32
  - .args:
      - .address_space:  global
        .offset:         0
        .size:           8
        .value_kind:     global_buffer
      - .offset:         8
        .size:           416
        .value_kind:     by_value
      - .address_space:  global
        .offset:         424
        .size:           8
        .value_kind:     global_buffer
      - .offset:         432
        .size:           4
        .value_kind:     by_value
      - .offset:         436
        .size:           4
        .value_kind:     by_value
      - .offset:         440
        .size:           4
        .value_kind:     by_value
      - .offset:         444
        .size:           4
        .value_kind:     by_value
      - .offset:         448
        .size:           4
        .value_kind:     hidden_block_count_x
      - .offset:         452
        .size:           4
        .value_kind:     hidden_block_count_y
      - .offset:         456
        .size:           4
        .value_kind:     hidden_block_count_z
      - .offset:         460
        .size:           2
        .value_kind:     hidden_group_size_x
      - .offset:         462
        .size:           2
        .value_kind:     hidden_group_size_y
      - .offset:         464
        .size:           2
        .value_kind:     hidden_group_size_z
      - .offset:         466
        .size:           2
        .value_kind:     hidden_remainder_x
      - .offset:         468
        .size:           2
        .value_kind:     hidden_remainder_y
      - .offset:         470
        .size:           2
        .value_kind:     hidden_remainder_z
      - .offset:         488
        .size:           8
        .value_kind:     hidden_global_offset_x
      - .offset:         496
        .size:           8
        .value_kind:     hidden_global_offset_y
      - .offset:         504
        .size:           8
        .value_kind:     hidden_global_offset_z
      - .offset:         512
        .size:           2
        .value_kind:     hidden_grid_dims
    .group_segment_fixed_size: 0
    .kernarg_segment_align: 8
    .kernarg_segment_size: 704
    .language:       OpenCL C
    .language_version:
      - 2
      - 0
    .max_flat_workgroup_size: 1024
    .name:           _Z14scatter_kernelIdL13ReductionType3EEvPKT_10TensorInfoIllEPS1_iiii
    .private_segment_fixed_size: 0
    .sgpr_count:     40
    .sgpr_spill_count: 0
    .symbol:         _Z14scatter_kernelIdL13ReductionType3EEvPKT_10TensorInfoIllEPS1_iiii.kd
    .uniform_work_group_size: 1
    .uses_dynamic_stack: false
    .vgpr_count:     24
    .vgpr_spill_count: 0
    .wavefront_size: 32
  - .args:
      - .address_space:  global
        .offset:         0
        .size:           8
        .value_kind:     global_buffer
      - .offset:         8
        .size:           416
        .value_kind:     by_value
      - .address_space:  global
        .offset:         424
        .size:           8
        .value_kind:     global_buffer
      - .offset:         432
        .size:           4
        .value_kind:     by_value
      - .offset:         436
        .size:           4
        .value_kind:     by_value
      - .offset:         440
        .size:           4
        .value_kind:     by_value
      - .offset:         444
        .size:           4
        .value_kind:     by_value
      - .offset:         448
        .size:           4
        .value_kind:     hidden_block_count_x
      - .offset:         452
        .size:           4
        .value_kind:     hidden_block_count_y
      - .offset:         456
        .size:           4
        .value_kind:     hidden_block_count_z
      - .offset:         460
        .size:           2
        .value_kind:     hidden_group_size_x
      - .offset:         462
        .size:           2
        .value_kind:     hidden_group_size_y
      - .offset:         464
        .size:           2
        .value_kind:     hidden_group_size_z
      - .offset:         466
        .size:           2
        .value_kind:     hidden_remainder_x
      - .offset:         468
        .size:           2
        .value_kind:     hidden_remainder_y
      - .offset:         470
        .size:           2
        .value_kind:     hidden_remainder_z
      - .offset:         488
        .size:           8
        .value_kind:     hidden_global_offset_x
      - .offset:         496
        .size:           8
        .value_kind:     hidden_global_offset_y
      - .offset:         504
        .size:           8
        .value_kind:     hidden_global_offset_z
      - .offset:         512
        .size:           2
        .value_kind:     hidden_grid_dims
    .group_segment_fixed_size: 0
    .kernarg_segment_align: 8
    .kernarg_segment_size: 704
    .language:       OpenCL C
    .language_version:
      - 2
      - 0
    .max_flat_workgroup_size: 1024
    .name:           _Z14scatter_kernelIdL13ReductionType4EEvPKT_10TensorInfoIllEPS1_iiii
    .private_segment_fixed_size: 0
    .sgpr_count:     40
    .sgpr_spill_count: 0
    .symbol:         _Z14scatter_kernelIdL13ReductionType4EEvPKT_10TensorInfoIllEPS1_iiii.kd
    .uniform_work_group_size: 1
    .uses_dynamic_stack: false
    .vgpr_count:     24
    .vgpr_spill_count: 0
    .wavefront_size: 32
amdhsa.target:   amdgcn-amd-amdhsa--gfx1250
amdhsa.version:
  - 1
  - 2
...

	.end_amdgpu_metadata
